;; amdgpu-corpus repo=ROCm/rocFFT kind=compiled arch=gfx950 opt=O3
	.text
	.amdgcn_target "amdgcn-amd-amdhsa--gfx950"
	.amdhsa_code_object_version 6
	.protected	fft_rtc_back_len1785_factors_17_3_5_7_wgs_119_tpt_119_halfLds_sp_op_CI_CI_sbrr_dirReg ; -- Begin function fft_rtc_back_len1785_factors_17_3_5_7_wgs_119_tpt_119_halfLds_sp_op_CI_CI_sbrr_dirReg
	.globl	fft_rtc_back_len1785_factors_17_3_5_7_wgs_119_tpt_119_halfLds_sp_op_CI_CI_sbrr_dirReg
	.p2align	8
	.type	fft_rtc_back_len1785_factors_17_3_5_7_wgs_119_tpt_119_halfLds_sp_op_CI_CI_sbrr_dirReg,@function
fft_rtc_back_len1785_factors_17_3_5_7_wgs_119_tpt_119_halfLds_sp_op_CI_CI_sbrr_dirReg: ; @fft_rtc_back_len1785_factors_17_3_5_7_wgs_119_tpt_119_halfLds_sp_op_CI_CI_sbrr_dirReg
; %bb.0:
	s_load_dwordx4 s[12:15], s[0:1], 0x18
	s_load_dwordx4 s[4:7], s[0:1], 0x0
	;; [unrolled: 1-line block ×3, first 2 shown]
	v_mul_u32_u24_e32 v1, 0x227, v0
	v_add_u32_sdwa v4, s2, v1 dst_sel:DWORD dst_unused:UNUSED_PAD src0_sel:DWORD src1_sel:WORD_1
	s_waitcnt lgkmcnt(0)
	s_load_dwordx2 s[18:19], s[12:13], 0x0
	s_load_dwordx2 s[16:17], s[14:15], 0x0
	v_mov_b32_e32 v2, 0
	v_cmp_lt_u64_e64 s[2:3], s[6:7], 2
	v_mov_b32_e32 v5, v2
	s_and_b64 vcc, exec, s[2:3]
	v_mov_b64_e32 v[14:15], 0
	s_cbranch_vccnz .LBB0_8
; %bb.1:
	s_load_dwordx2 s[2:3], s[0:1], 0x10
	s_add_u32 s20, s14, 8
	s_addc_u32 s21, s15, 0
	s_add_u32 s22, s12, 8
	s_addc_u32 s23, s13, 0
	s_waitcnt lgkmcnt(0)
	s_add_u32 s24, s2, 8
	v_mov_b64_e32 v[14:15], 0
	s_addc_u32 s25, s3, 0
	s_mov_b64 s[26:27], 1
	v_mov_b64_e32 v[12:13], v[14:15]
.LBB0_2:                                ; =>This Inner Loop Header: Depth=1
	s_load_dwordx2 s[28:29], s[24:25], 0x0
                                        ; implicit-def: $vgpr16_vgpr17
	s_waitcnt lgkmcnt(0)
	v_or_b32_e32 v3, s29, v5
	v_cmp_ne_u64_e32 vcc, 0, v[2:3]
	s_and_saveexec_b64 s[2:3], vcc
	s_xor_b64 s[30:31], exec, s[2:3]
	s_cbranch_execz .LBB0_4
; %bb.3:                                ;   in Loop: Header=BB0_2 Depth=1
	v_cvt_f32_u32_e32 v1, s28
	v_cvt_f32_u32_e32 v3, s29
	s_sub_u32 s2, 0, s28
	s_subb_u32 s3, 0, s29
	v_fmac_f32_e32 v1, 0x4f800000, v3
	v_rcp_f32_e32 v1, v1
	s_nop 0
	v_mul_f32_e32 v1, 0x5f7ffffc, v1
	v_mul_f32_e32 v3, 0x2f800000, v1
	v_trunc_f32_e32 v3, v3
	v_fmac_f32_e32 v1, 0xcf800000, v3
	v_cvt_u32_f32_e32 v3, v3
	v_cvt_u32_f32_e32 v1, v1
	v_mul_lo_u32 v6, s2, v3
	v_mul_hi_u32 v8, s2, v1
	v_mul_lo_u32 v7, s3, v1
	v_add_u32_e32 v8, v8, v6
	v_mul_lo_u32 v10, s2, v1
	v_add_u32_e32 v11, v8, v7
	v_mul_hi_u32 v6, v1, v10
	v_mul_hi_u32 v9, v1, v11
	v_mul_lo_u32 v8, v1, v11
	v_mov_b32_e32 v7, v2
	v_lshl_add_u64 v[6:7], v[6:7], 0, v[8:9]
	v_mul_hi_u32 v9, v3, v10
	v_mul_lo_u32 v10, v3, v10
	v_add_co_u32_e32 v6, vcc, v6, v10
	v_mul_hi_u32 v8, v3, v11
	s_nop 0
	v_addc_co_u32_e32 v6, vcc, v7, v9, vcc
	v_mov_b32_e32 v7, v2
	s_nop 0
	v_addc_co_u32_e32 v9, vcc, 0, v8, vcc
	v_mul_lo_u32 v8, v3, v11
	v_lshl_add_u64 v[6:7], v[6:7], 0, v[8:9]
	v_add_co_u32_e32 v1, vcc, v1, v6
	v_mul_lo_u32 v8, s2, v1
	s_nop 0
	v_addc_co_u32_e32 v3, vcc, v3, v7, vcc
	v_mul_lo_u32 v6, s2, v3
	v_mul_hi_u32 v7, s2, v1
	v_add_u32_e32 v6, v7, v6
	v_mul_lo_u32 v7, s3, v1
	v_add_u32_e32 v10, v6, v7
	v_mul_hi_u32 v16, v3, v8
	v_mul_lo_u32 v17, v3, v8
	v_mul_hi_u32 v7, v1, v10
	v_mul_lo_u32 v6, v1, v10
	v_mul_hi_u32 v8, v1, v8
	v_mov_b32_e32 v9, v2
	v_lshl_add_u64 v[6:7], v[8:9], 0, v[6:7]
	v_add_co_u32_e32 v6, vcc, v6, v17
	v_mul_hi_u32 v11, v3, v10
	s_nop 0
	v_addc_co_u32_e32 v6, vcc, v7, v16, vcc
	v_mul_lo_u32 v8, v3, v10
	s_nop 0
	v_addc_co_u32_e32 v9, vcc, 0, v11, vcc
	v_mov_b32_e32 v7, v2
	v_lshl_add_u64 v[6:7], v[6:7], 0, v[8:9]
	v_add_co_u32_e32 v1, vcc, v1, v6
	v_mul_hi_u32 v8, v4, v1
	s_nop 0
	v_addc_co_u32_e32 v3, vcc, v3, v7, vcc
	v_mad_u64_u32 v[6:7], s[2:3], v4, v3, 0
	v_mov_b32_e32 v9, v2
	v_lshl_add_u64 v[6:7], v[8:9], 0, v[6:7]
	v_mad_u64_u32 v[10:11], s[2:3], v5, v1, 0
	v_add_co_u32_e32 v1, vcc, v6, v10
	v_mad_u64_u32 v[8:9], s[2:3], v5, v3, 0
	s_nop 0
	v_addc_co_u32_e32 v6, vcc, v7, v11, vcc
	v_mov_b32_e32 v7, v2
	s_nop 0
	v_addc_co_u32_e32 v9, vcc, 0, v9, vcc
	v_lshl_add_u64 v[6:7], v[6:7], 0, v[8:9]
	v_mul_lo_u32 v1, s29, v6
	v_mul_lo_u32 v3, s28, v7
	v_mad_u64_u32 v[8:9], s[2:3], s28, v6, 0
	v_add3_u32 v1, v9, v3, v1
	v_sub_u32_e32 v3, v5, v1
	v_mov_b32_e32 v9, s29
	v_sub_co_u32_e32 v16, vcc, v4, v8
	v_lshl_add_u64 v[10:11], v[6:7], 0, 1
	s_nop 0
	v_subb_co_u32_e64 v3, s[2:3], v3, v9, vcc
	v_subrev_co_u32_e64 v8, s[2:3], s28, v16
	v_subb_co_u32_e32 v1, vcc, v5, v1, vcc
	s_nop 0
	v_subbrev_co_u32_e64 v3, s[2:3], 0, v3, s[2:3]
	v_cmp_le_u32_e64 s[2:3], s29, v3
	v_cmp_le_u32_e32 vcc, s29, v1
	s_nop 0
	v_cndmask_b32_e64 v9, 0, -1, s[2:3]
	v_cmp_le_u32_e64 s[2:3], s28, v8
	s_nop 1
	v_cndmask_b32_e64 v8, 0, -1, s[2:3]
	v_cmp_eq_u32_e64 s[2:3], s29, v3
	s_nop 1
	v_cndmask_b32_e64 v3, v9, v8, s[2:3]
	v_lshl_add_u64 v[8:9], v[6:7], 0, 2
	v_cmp_ne_u32_e64 s[2:3], 0, v3
	s_nop 1
	v_cndmask_b32_e64 v3, v11, v9, s[2:3]
	v_cndmask_b32_e64 v9, 0, -1, vcc
	v_cmp_le_u32_e32 vcc, s28, v16
	s_nop 1
	v_cndmask_b32_e64 v11, 0, -1, vcc
	v_cmp_eq_u32_e32 vcc, s29, v1
	s_nop 1
	v_cndmask_b32_e32 v1, v9, v11, vcc
	v_cmp_ne_u32_e32 vcc, 0, v1
	v_cndmask_b32_e64 v1, v10, v8, s[2:3]
	s_nop 0
	v_cndmask_b32_e32 v17, v7, v3, vcc
	v_cndmask_b32_e32 v16, v6, v1, vcc
.LBB0_4:                                ;   in Loop: Header=BB0_2 Depth=1
	s_andn2_saveexec_b64 s[2:3], s[30:31]
	s_cbranch_execz .LBB0_6
; %bb.5:                                ;   in Loop: Header=BB0_2 Depth=1
	v_cvt_f32_u32_e32 v1, s28
	s_sub_i32 s30, 0, s28
	v_mov_b32_e32 v17, v2
	v_rcp_iflag_f32_e32 v1, v1
	s_nop 0
	v_mul_f32_e32 v1, 0x4f7ffffe, v1
	v_cvt_u32_f32_e32 v1, v1
	v_mul_lo_u32 v3, s30, v1
	v_mul_hi_u32 v3, v1, v3
	v_add_u32_e32 v1, v1, v3
	v_mul_hi_u32 v1, v4, v1
	v_mul_lo_u32 v3, v1, s28
	v_sub_u32_e32 v3, v4, v3
	v_add_u32_e32 v6, 1, v1
	v_subrev_u32_e32 v7, s28, v3
	v_cmp_le_u32_e32 vcc, s28, v3
	s_nop 1
	v_cndmask_b32_e32 v3, v3, v7, vcc
	v_cndmask_b32_e32 v1, v1, v6, vcc
	v_add_u32_e32 v6, 1, v1
	v_cmp_le_u32_e32 vcc, s28, v3
	s_nop 1
	v_cndmask_b32_e32 v16, v1, v6, vcc
.LBB0_6:                                ;   in Loop: Header=BB0_2 Depth=1
	s_or_b64 exec, exec, s[2:3]
	v_mad_u64_u32 v[6:7], s[2:3], v16, s28, 0
	s_load_dwordx2 s[2:3], s[22:23], 0x0
	v_mul_lo_u32 v1, v17, s28
	v_mul_lo_u32 v3, v16, s29
	s_load_dwordx2 s[28:29], s[20:21], 0x0
	s_add_u32 s26, s26, 1
	v_add3_u32 v1, v7, v3, v1
	v_sub_co_u32_e32 v3, vcc, v4, v6
	s_addc_u32 s27, s27, 0
	s_nop 0
	v_subb_co_u32_e32 v1, vcc, v5, v1, vcc
	s_add_u32 s20, s20, 8
	s_waitcnt lgkmcnt(0)
	v_mul_lo_u32 v4, s2, v1
	v_mul_lo_u32 v5, s3, v3
	v_mad_u64_u32 v[14:15], s[2:3], s2, v3, v[14:15]
	s_addc_u32 s21, s21, 0
	v_add3_u32 v15, v5, v15, v4
	v_mul_lo_u32 v1, s28, v1
	v_mul_lo_u32 v4, s29, v3
	v_mad_u64_u32 v[12:13], s[2:3], s28, v3, v[12:13]
	s_add_u32 s22, s22, 8
	v_add3_u32 v13, v4, v13, v1
	s_addc_u32 s23, s23, 0
	v_mov_b64_e32 v[4:5], s[6:7]
	s_add_u32 s24, s24, 8
	v_cmp_ge_u64_e32 vcc, s[26:27], v[4:5]
	s_addc_u32 s25, s25, 0
	s_cbranch_vccnz .LBB0_9
; %bb.7:                                ;   in Loop: Header=BB0_2 Depth=1
	v_mov_b64_e32 v[4:5], v[16:17]
	s_branch .LBB0_2
.LBB0_8:
	v_mov_b64_e32 v[12:13], v[14:15]
	v_mov_b64_e32 v[16:17], v[4:5]
.LBB0_9:
	s_load_dwordx2 s[0:1], s[0:1], 0x28
	s_lshl_b64 s[20:21], s[6:7], 3
	s_mov_b32 s6, 0x226b903
	v_mul_hi_u32 v1, v0, s6
	v_mul_u32_u24_e32 v1, 0x77, v1
	s_waitcnt lgkmcnt(0)
	v_cmp_gt_u64_e32 vcc, s[0:1], v[16:17]
	v_sub_u32_e32 v116, v0, v1
	s_movk_i32 s0, 0x69
	s_add_u32 s2, s14, s20
	v_cmp_gt_u32_e64 s[0:1], s0, v116
	s_addc_u32 s3, s15, s21
	s_and_b64 s[14:15], vcc, s[0:1]
	v_mov_b32_e32 v7, 0
	v_mov_b32_e32 v21, 0
                                        ; implicit-def: $vgpr30
                                        ; implicit-def: $vgpr0
                                        ; implicit-def: $vgpr34
                                        ; implicit-def: $vgpr4
                                        ; implicit-def: $vgpr18
                                        ; implicit-def: $vgpr32
                                        ; implicit-def: $vgpr42
                                        ; implicit-def: $vgpr8
                                        ; implicit-def: $vgpr26
                                        ; implicit-def: $vgpr36
                                        ; implicit-def: $vgpr38
                                        ; implicit-def: $vgpr10
                                        ; implicit-def: $vgpr24
                                        ; implicit-def: $vgpr40
                                        ; implicit-def: $vgpr2
	s_and_saveexec_b64 s[6:7], s[14:15]
	s_cbranch_execz .LBB0_11
; %bb.10:
	s_add_u32 s12, s12, s20
	s_addc_u32 s13, s13, s21
	s_load_dwordx2 s[12:13], s[12:13], 0x0
	v_add_u32_e32 v7, 0x69, v116
	v_add_u32_e32 v9, 0xd2, v116
	;; [unrolled: 1-line block ×3, first 2 shown]
	s_waitcnt lgkmcnt(0)
	v_mul_lo_u32 v2, s13, v16
	v_mul_lo_u32 v3, s12, v17
	v_mad_u64_u32 v[0:1], s[12:13], s12, v16, 0
	v_add3_u32 v1, v1, v3, v2
	v_mad_u64_u32 v[2:3], s[12:13], s18, v116, 0
	v_mov_b32_e32 v4, v3
	v_mad_u64_u32 v[4:5], s[12:13], s19, v116, v[4:5]
	v_lshl_add_u64 v[0:1], v[0:1], 3, s[8:9]
	v_mov_b32_e32 v3, v4
	v_lshl_add_u64 v[4:5], v[14:15], 3, v[0:1]
	v_lshl_add_u64 v[0:1], v[2:3], 3, v[4:5]
	v_mad_u64_u32 v[2:3], s[8:9], s18, v7, 0
	v_mov_b32_e32 v6, v3
	v_mad_u64_u32 v[6:7], s[8:9], s19, v7, v[6:7]
	v_mov_b32_e32 v3, v6
	;; [unrolled: 2-line block ×5, first 2 shown]
	v_mad_u64_u32 v[10:11], s[8:9], s19, v11, v[10:11]
	v_lshl_add_u64 v[2:3], v[2:3], 3, v[4:5]
	v_mov_b32_e32 v9, v10
	v_lshl_add_u64 v[6:7], v[6:7], 3, v[4:5]
	v_lshl_add_u64 v[8:9], v[8:9], 3, v[4:5]
	global_load_dwordx2 v[10:11], v[0:1], off
	global_load_dwordx2 v[14:15], v[2:3], off
	;; [unrolled: 1-line block ×4, first 2 shown]
	v_add_u32_e32 v3, 0x1a4, v116
	v_mad_u64_u32 v[0:1], s[8:9], s18, v3, 0
	v_mov_b32_e32 v2, v1
	v_mad_u64_u32 v[2:3], s[8:9], s19, v3, v[2:3]
	v_add_u32_e32 v7, 0x20d, v116
	v_mov_b32_e32 v1, v2
	v_mad_u64_u32 v[2:3], s[8:9], s18, v7, 0
	v_mov_b32_e32 v6, v3
	v_mad_u64_u32 v[6:7], s[8:9], s19, v7, v[6:7]
	v_add_u32_e32 v9, 0x276, v116
	v_mov_b32_e32 v3, v6
	v_mad_u64_u32 v[6:7], s[8:9], s18, v9, 0
	v_mov_b32_e32 v8, v7
	v_mad_u64_u32 v[8:9], s[8:9], s19, v9, v[8:9]
	v_lshl_add_u64 v[0:1], v[0:1], 3, v[4:5]
	v_mov_b32_e32 v7, v8
	v_lshl_add_u64 v[2:3], v[2:3], 3, v[4:5]
	v_lshl_add_u64 v[6:7], v[6:7], 3, v[4:5]
	global_load_dwordx2 v[26:27], v[0:1], off
	global_load_dwordx2 v[18:19], v[2:3], off
	;; [unrolled: 1-line block ×3, first 2 shown]
	v_add_u32_e32 v1, 0x2df, v116
	v_mad_u64_u32 v[6:7], s[8:9], s18, v1, 0
	v_mov_b32_e32 v0, v7
	v_add_u32_e32 v3, 0x348, v116
	v_mad_u64_u32 v[28:29], s[8:9], s19, v1, v[0:1]
	v_mad_u64_u32 v[0:1], s[8:9], s18, v3, 0
	v_mov_b32_e32 v2, v1
	v_mad_u64_u32 v[2:3], s[8:9], s19, v3, v[2:3]
	v_mov_b32_e32 v1, v2
	v_add_u32_e32 v3, 0x3b1, v116
	v_lshl_add_u64 v[30:31], v[0:1], 3, v[4:5]
	v_mad_u64_u32 v[0:1], s[8:9], s18, v3, 0
	v_mov_b32_e32 v2, v1
	v_mad_u64_u32 v[2:3], s[8:9], s19, v3, v[2:3]
	v_mov_b32_e32 v1, v2
	v_add_u32_e32 v3, 0x41a, v116
	v_lshl_add_u64 v[32:33], v[0:1], 3, v[4:5]
	;; [unrolled: 6-line block ×4, first 2 shown]
	global_load_dwordx2 v[2:3], v[30:31], off
	global_load_dwordx2 v[20:21], v[32:33], off
	;; [unrolled: 1-line block ×4, first 2 shown]
	v_mad_u64_u32 v[30:31], s[8:9], s18, v7, 0
	v_mov_b32_e32 v32, v31
	v_mad_u64_u32 v[32:33], s[8:9], s19, v7, v[32:33]
	v_add_u32_e32 v7, 0x555, v116
	v_mov_b32_e32 v31, v32
	v_mad_u64_u32 v[32:33], s[8:9], s18, v7, 0
	v_mov_b32_e32 v34, v33
	v_mad_u64_u32 v[34:35], s[8:9], s19, v7, v[34:35]
	v_mov_b32_e32 v33, v34
	v_add_u32_e32 v7, 0x5be, v116
	v_lshl_add_u64 v[34:35], v[32:33], 3, v[4:5]
	v_mad_u64_u32 v[32:33], s[8:9], s18, v7, 0
	v_mov_b32_e32 v36, v33
	v_mad_u64_u32 v[36:37], s[8:9], s19, v7, v[36:37]
	v_add_u32_e32 v7, 0x627, v116
	v_mov_b32_e32 v33, v36
	v_mad_u64_u32 v[36:37], s[8:9], s18, v7, 0
	v_lshl_add_u64 v[42:43], v[32:33], 3, v[4:5]
	v_mov_b32_e32 v32, v37
	v_mad_u64_u32 v[32:33], s[8:9], s19, v7, v[32:33]
	v_lshl_add_u64 v[30:31], v[30:31], 3, v[4:5]
	v_mov_b32_e32 v37, v32
	global_load_dwordx2 v[32:33], v[30:31], off
	v_lshl_add_u64 v[30:31], v[36:37], 3, v[4:5]
	v_add_u32_e32 v7, 0x690, v116
	global_load_dwordx2 v[36:37], v[34:35], off
	global_load_dwordx2 v[44:45], v[42:43], off
	;; [unrolled: 1-line block ×3, first 2 shown]
	v_mad_u64_u32 v[30:31], s[8:9], s18, v7, 0
	v_mov_b32_e32 v34, v31
	v_mad_u64_u32 v[34:35], s[8:9], s19, v7, v[34:35]
	v_mov_b32_e32 v31, v34
	v_lshl_add_u64 v[30:31], v[30:31], 3, v[4:5]
	v_mov_b32_e32 v7, v28
	global_load_dwordx2 v[46:47], v[30:31], off
	v_lshl_add_u64 v[4:5], v[6:7], 3, v[4:5]
	global_load_dwordx2 v[30:31], v[4:5], off
	s_waitcnt vmcnt(16)
	v_mov_b32_e32 v7, v11
	s_waitcnt vmcnt(11)
	v_mov_b32_e32 v34, v19
	;; [unrolled: 2-line block ×3, first 2 shown]
	v_mov_b32_e32 v19, v8
	v_mov_b32_e32 v42, v27
	;; [unrolled: 1-line block ×4, first 2 shown]
	s_waitcnt vmcnt(8)
	v_mov_b32_e32 v6, v21
	v_mov_b32_e32 v21, v10
	s_waitcnt vmcnt(6)
	v_mov_b32_e32 v5, v39
	v_mov_b32_e32 v39, v15
	;; [unrolled: 3-line block ×3, first 2 shown]
	s_waitcnt vmcnt(4)
	v_mov_b32_e32 v8, v37
	s_waitcnt vmcnt(3)
	v_mov_b32_e32 v9, v45
	v_mov_b32_e32 v37, v44
	;; [unrolled: 1-line block ×3, first 2 shown]
	s_waitcnt vmcnt(2)
	v_mov_b32_e32 v10, v41
	v_mov_b32_e32 v25, v14
	s_waitcnt vmcnt(1)
	v_mov_b32_e32 v11, v47
	v_mov_b32_e32 v41, v46
.LBB0_11:
	s_or_b64 exec, exec, s[6:7]
	s_mov_b32 s20, 0xbf2c7751
	v_pk_add_f32 v[54:55], v[38:39], v[10:11] neg_lo:[0,1] neg_hi:[0,1]
	s_mov_b32 s18, 0x3f3d2fb0
	s_mov_b32 s21, 0xbeb8f4ab
	v_pk_add_f32 v[52:53], v[24:25], v[40:41]
	s_mov_b32 s19, 0x3f6eb680
	v_pk_mul_f32 v[66:67], v[54:55], s[20:21] op_sel:[1,0]
	s_mov_b32 s22, 0xbf7ee86f
	s_mov_b32 s23, s20
	v_pk_add_f32 v[50:51], v[42:43], v[8:9] neg_lo:[0,1] neg_hi:[0,1]
	v_pk_fma_f32 v[14:15], v[52:53], s[18:19], v[66:67] op_sel:[1,0,0] neg_lo:[0,0,1] neg_hi:[0,0,1]
	v_mov_b32_e32 v22, v21
	s_mov_b32 s12, 0x3dbcf732
	s_mov_b32 s13, s18
	v_pk_mul_f32 v[74:75], v[54:55], s[22:23] op_sel_hi:[0,1]
	s_mov_b32 s27, 0xbf65296c
	s_mov_b32 s26, 0xbf4c4adb
	v_pk_add_f32 v[48:49], v[26:27], v[36:37]
	v_pk_add_f32 v[14:15], v[22:23], v[14:15] op_sel_hi:[0,1]
	v_pk_fma_f32 v[22:23], v[52:53], s[12:13], v[74:75] op_sel_hi:[0,1,1] neg_lo:[0,0,1] neg_hi:[0,0,1]
	s_mov_b32 s9, 0x3ee437d1
	s_mov_b32 s8, 0xbf1a4643
	v_pk_mul_f32 v[78:79], v[50:51], s[26:27] op_sel:[1,0]
	s_mov_b32 s28, 0xbe3c28d5
	s_mov_b32 s29, s22
	v_pk_add_f32 v[46:47], v[34:35], v[4:5] neg_lo:[0,1] neg_hi:[0,1]
	v_pk_add_f32 v[14:15], v[22:23], v[14:15]
	v_pk_fma_f32 v[22:23], v[48:49], s[8:9], v[78:79] op_sel:[1,0,0] neg_lo:[0,0,1] neg_hi:[0,0,1]
	s_mov_b32 s14, 0xbf7ba420
	s_mov_b32 s15, s12
	v_pk_mul_f32 v[80:81], v[50:51], s[28:29] op_sel_hi:[0,1]
	s_mov_b32 s24, 0xbf59a7d5
	s_mov_b32 s7, 0xbf763a35
	;; [unrolled: 1-line block ×3, first 2 shown]
	v_pk_add_f32 v[44:45], v[18:19], v[32:33]
	v_pk_add_f32 v[14:15], v[22:23], v[14:15]
	v_pk_fma_f32 v[22:23], v[48:49], s[14:15], v[80:81] op_sel_hi:[0,1,1] neg_lo:[0,0,1] neg_hi:[0,0,1]
	s_mov_b32 s25, 0xbe8c1d8e
	v_pk_mul_f32 v[82:83], v[46:47], s[6:7] op_sel_hi:[0,1]
	s_mov_b32 s34, 0x3f763a35
	s_mov_b32 s35, s26
	v_pk_add_f32 v[14:15], v[22:23], v[14:15]
	v_pk_fma_f32 v[22:23], v[44:45], s[24:25], v[82:83] op_sel_hi:[0,1,1] neg_lo:[0,0,1] neg_hi:[0,0,1]
	s_mov_b32 s42, s25
	s_mov_b32 s43, s8
	v_pk_mul_f32 v[84:85], v[46:47], s[34:35] op_sel:[1,0]
	v_pk_add_f32 v[14:15], v[14:15], v[22:23]
	v_pk_fma_f32 v[22:23], v[44:45], s[42:43], v[84:85] op_sel:[1,0,0] neg_lo:[0,0,1] neg_hi:[0,0,1]
	s_mov_b32 s30, 0x3f65296c
	v_pk_add_f32 v[14:15], v[22:23], v[14:15]
	s_mov_b32 s31, 0xbf06c442
	s_waitcnt vmcnt(0)
	v_pk_add_f32 v[22:23], v[30:31], v[0:1] neg_lo:[0,1] neg_hi:[0,1]
	s_mov_b32 s44, s9
	s_mov_b32 s45, s24
	v_pk_add_f32 v[28:29], v[30:31], v[0:1]
	v_pk_mul_f32 v[86:87], v[22:23], s[30:31] op_sel:[1,0]
	s_mov_b32 s36, 0x3eb8f4ab
	v_pk_fma_f32 v[56:57], v[28:29], s[44:45], v[86:87] op_sel_hi:[0,1,1] neg_lo:[0,0,1] neg_hi:[0,0,1]
	v_pk_add_f32 v[14:15], v[14:15], v[56:57]
	v_mov_b32_e32 v56, v3
	v_pk_add_f32 v[56:57], v[56:57], v[6:7] op_sel_hi:[0,1] neg_lo:[0,1] neg_hi:[0,1]
	s_mov_b32 s37, s28
	s_mov_b32 s40, s19
	;; [unrolled: 1-line block ×3, first 2 shown]
	v_pk_add_f32 v[58:59], v[2:3], v[20:21]
	v_pk_mul_f32 v[70:71], v[56:57], s[36:37] op_sel_hi:[0,1]
	v_pk_fma_f32 v[60:61], v[58:59], s[40:41], v[70:71] op_sel_hi:[0,1,1] neg_lo:[0,0,1] neg_hi:[0,0,1]
	v_pk_add_f32 v[14:15], v[60:61], v[14:15]
	s_and_saveexec_b64 s[38:39], s[0:1]
	s_cbranch_execz .LBB0_13
; %bb.12:
	v_pk_mul_f32 v[96:97], v[52:53], s[18:19] op_sel:[1,0]
	v_pk_mul_f32 v[98:99], v[52:53], s[12:13] op_sel_hi:[0,1]
	v_mov_b32_e32 v94, v74
	v_mov_b32_e32 v95, v66
	;; [unrolled: 1-line block ×4, first 2 shown]
	v_pk_add_f32 v[94:95], v[94:95], v[100:101]
	v_pk_mul_f32 v[102:103], v[48:49], s[8:9] op_sel:[1,0]
	v_pk_add_f32 v[100:101], v[20:21], v[94:95]
	v_pk_mul_f32 v[104:105], v[48:49], s[14:15] op_sel_hi:[0,1]
	v_mov_b32_e32 v66, v101
	v_mov_b32_e32 v100, v80
	;; [unrolled: 1-line block ×5, first 2 shown]
	v_pk_add_f32 v[100:101], v[100:101], v[106:107]
	v_pk_add_f32 v[94:95], v[94:95], v[66:67]
	v_mov_b32_e32 v66, v101
	v_pk_add_f32 v[94:95], v[66:67], v[94:95]
	v_pk_mul_f32 v[106:107], v[44:45], s[24:25] op_sel_hi:[0,1]
	v_pk_mul_f32 v[108:109], v[44:45], s[42:43] op_sel:[1,0]
	v_pk_add_f32 v[94:95], v[100:101], v[94:95]
	v_mov_b32_e32 v100, v84
	v_mov_b32_e32 v101, v82
	;; [unrolled: 1-line block ×4, first 2 shown]
	v_pk_add_f32 v[100:101], v[100:101], v[110:111]
	v_pk_add_f32 v[74:75], v[74:75], v[98:99]
	v_mov_b32_e32 v66, v101
	v_pk_add_f32 v[98:99], v[20:21], v[24:25]
	v_pk_add_f32 v[94:95], v[94:95], v[66:67]
	v_mov_b32_e32 v66, v99
	v_pk_add_f32 v[98:99], v[66:67], v[24:25]
	v_mov_b32_e32 v66, v27
	v_mov_b32_e32 v76, v54
	;; [unrolled: 1-line block ×3, first 2 shown]
	s_mov_b32 s29, 0x3f2c7751
	s_mov_b32 s35, s30
	v_pk_mul_f32 v[68:69], v[52:53], s[8:9]
	v_pk_add_f32 v[98:99], v[98:99], v[66:67]
	v_mov_b32_e32 v64, v51
	v_mov_b32_e32 v65, v51
	v_pk_mul_f32 v[60:61], v[76:77], s[34:35]
	s_mov_b32 s35, s29
	v_pk_fma_f32 v[72:73], v[54:55], s[26:27], v[68:69] neg_lo:[1,0,0] neg_hi:[1,0,0]
	s_mov_b32 s46, s25
	s_mov_b32 s47, s14
	v_pk_add_f32 v[98:99], v[98:99], v[26:27]
	v_pk_mul_f32 v[62:63], v[64:65], s[34:35]
	v_pk_mul_f32 v[88:89], v[48:49], s[46:47]
	s_mov_b32 s35, 0x3e3c28d5
	v_add_f32_e32 v57, v21, v73
	v_pk_add_f32 v[98:99], v[98:99], v[18:19]
	v_mov_b32_e32 v66, v19
	v_pk_fma_f32 v[90:91], v[50:51], s[34:35], v[88:89] neg_lo:[1,0,0] neg_hi:[1,0,0]
	v_add_f32_e32 v57, v72, v57
	v_pk_add_f32 v[98:99], v[98:99], v[66:67]
	v_pk_mul_f32 v[72:73], v[44:45], s[18:19]
	s_mov_b32 s46, s29
	s_mov_b32 s47, s21
	v_add_f32_e32 v57, v91, v57
	v_pk_add_f32 v[98:99], v[98:99], v[30:31]
	v_add_f32_e32 v57, v90, v57
	v_pk_fma_f32 v[90:91], v[46:47], s[46:47], v[72:73] neg_lo:[1,0,0] neg_hi:[1,0,0]
	v_mov_b32_e32 v99, v67
	v_mov_b32_e32 v96, v2
	v_add_f32_e32 v57, v57, v90
	v_pk_fma_f32 v[68:69], v[54:55], s[26:27], v[68:69]
	v_pk_add_f32 v[66:67], v[98:99], v[96:97]
	v_add_f32_e32 v117, v91, v57
	v_pk_add_f32 v[90:91], v[20:21], v[68:69]
	v_pk_add_f32 v[78:79], v[78:79], v[102:103]
	;; [unrolled: 1-line block ×3, first 2 shown]
	v_mov_b32_e32 v74, v0
	v_mov_b32_e32 v90, v91
	v_pk_fma_f32 v[88:89], v[50:51], s[34:35], v[88:89]
	v_pk_add_f32 v[80:81], v[80:81], v[104:105]
	v_pk_add_f32 v[66:67], v[66:67], v[74:75]
	v_mov_b32_e32 v78, v33
	v_pk_add_f32 v[68:69], v[68:69], v[90:91]
	v_mov_b32_e32 v90, v89
	v_pk_add_f32 v[82:83], v[82:83], v[106:107]
	v_pk_add_f32 v[66:67], v[78:79], v[66:67]
	v_mov_b32_e32 v80, v32
	v_pk_add_f32 v[68:69], v[90:91], v[68:69]
	v_pk_add_f32 v[94:95], v[100:101], v[94:95]
	v_pk_mul_f32 v[100:101], v[28:29], s[44:45] op_sel_hi:[0,1]
	v_pk_add_f32 v[84:85], v[84:85], v[108:109]
	v_pk_add_f32 v[66:67], v[80:81], v[66:67]
	v_mov_b32_e32 v82, v36
	v_pk_add_f32 v[68:69], v[88:89], v[68:69]
	v_pk_fma_f32 v[72:73], v[46:47], s[46:47], v[72:73]
	v_pk_add_f32 v[86:87], v[86:87], v[100:101]
	v_pk_add_f32 v[66:67], v[82:83], v[66:67]
	v_mov_b32_e32 v84, v37
	v_mov_b32_e32 v90, v55
	;; [unrolled: 1-line block ×3, first 2 shown]
	s_mov_b32 s23, s7
	v_pk_add_f32 v[68:69], v[68:69], v[72:73]
	v_pk_mul_f32 v[78:79], v[58:59], s[40:41] op_sel_hi:[0,1]
	v_pk_add_f32 v[66:67], v[84:85], v[66:67]
	v_mov_b32_e32 v80, v40
	v_mov_b32_e32 v81, v87
	;; [unrolled: 1-line block ×5, first 2 shown]
	v_pk_mul_f32 v[68:69], v[90:91], s[22:23]
	s_mov_b32 s23, s12
	v_pk_add_f32 v[66:67], v[80:81], v[66:67]
	v_pk_add_f32 v[80:81], v[70:71], v[78:79]
	;; [unrolled: 1-line block ×3, first 2 shown]
	v_pk_mul_f32 v[72:73], v[88:89], s[22:23]
	s_movk_i32 s13, 0x44
	v_mov_b32_e32 v80, v41
	v_mov_b32_e32 v57, v72
	v_pk_add_f32 v[66:67], v[80:81], v[66:67]
	v_mad_u32_u24 v59, v116, s13, 0
	v_pk_fma_f32 v[88:89], v[88:89], s[22:23], v[56:57]
	ds_write2_b32 v59, v66, v67 offset1:1
	v_mov_b32_e32 v66, v21
	v_mov_b32_e32 v67, v21
	v_mul_f32_e32 v21, 0xbf06c442, v56
	v_mul_f32_e32 v87, 0xbf59a7d5, v58
	v_mov_b32_e32 v95, v21
	v_mov_b32_e32 v71, v93
	;; [unrolled: 1-line block ×3, first 2 shown]
	v_pk_add_f32 v[80:81], v[94:95], v[86:87]
	v_pk_add_f32 v[70:71], v[70:71], v[78:79]
	v_mov_b32_e32 v74, v53
	v_mov_b32_e32 v75, v53
	s_mov_b32 s40, s12
	s_mov_b32 s41, s25
	;; [unrolled: 1-line block ×4, first 2 shown]
	v_pk_add_f32 v[70:71], v[80:81], v[70:71]
	v_mov_b32_e32 v82, v52
	v_mov_b32_e32 v83, v52
	s_mov_b32 s42, s14
	s_mov_b32 s43, s24
	v_pk_mul_f32 v[76:77], v[76:77], s[44:45]
	ds_write2_b32 v59, v70, v71 offset0:2 offset1:3
	v_pk_fma_f32 v[70:71], v[74:75], s[40:41], v[68:69]
	v_mov_b32_e32 v84, v49
	v_mov_b32_e32 v85, v49
	s_mov_b32 s44, s25
	s_mov_b32 s45, s18
	v_pk_add_f32 v[70:71], v[66:67], v[70:71]
	v_pk_fma_f32 v[80:81], v[82:83], s[42:43], v[76:77]
	v_mov_b32_e32 v78, v50
	v_mov_b32_e32 v79, v50
	s_mov_b32 s37, s27
	v_pk_add_f32 v[70:71], v[80:81], v[70:71]
	v_pk_fma_f32 v[80:81], v[84:85], s[44:45], v[62:63]
	v_mov_b32_e32 v86, v48
	v_mov_b32_e32 v87, v48
	s_mov_b32 s46, s19
	s_mov_b32 s47, s9
	v_pk_add_f32 v[70:71], v[80:81], v[70:71]
	v_pk_mul_f32 v[80:81], v[78:79], s[36:37]
	v_mov_b32_e32 v92, v46
	v_pk_fma_f32 v[88:89], v[86:87], s[46:47], v[80:81]
	v_mov_b32_e32 v93, v46
	s_mov_b32 s50, s27
	s_mov_b32 s51, s28
	v_pk_add_f32 v[70:71], v[88:89], v[70:71]
	v_mov_b32_e32 v88, v44
	v_mov_b32_e32 v89, v44
	s_mov_b32 s48, s9
	s_mov_b32 s49, s14
	v_pk_mul_f32 v[94:95], v[92:93], s[50:51]
	s_mov_b32 s64, 0x3f7ee86f
	v_pk_fma_f32 v[96:97], v[88:89], s[48:49], v[94:95]
	v_mov_b32_e32 v98, v47
	v_mov_b32_e32 v99, v47
	s_mov_b32 s52, s31
	s_mov_b32 s53, s64
	v_pk_add_f32 v[70:71], v[70:71], v[96:97]
	v_mov_b32_e32 v96, v45
	v_mov_b32_e32 v97, v45
	s_mov_b32 s50, s24
	s_mov_b32 s51, s12
	v_pk_mul_f32 v[100:101], v[98:99], s[52:53]
	s_mov_b32 s67, 0x3f4c4adb
	v_pk_fma_f32 v[102:103], v[96:97], s[50:51], v[100:101]
	v_mov_b32_e32 v104, v23
	v_mov_b32_e32 v105, v23
	s_mov_b32 s54, s67
	s_mov_b32 s55, s21
	v_pk_add_f32 v[70:71], v[102:103], v[70:71]
	v_mov_b32_e32 v102, v28
	v_mov_b32_e32 v103, v28
	s_mov_b32 s52, s8
	s_mov_b32 s53, s19
	v_pk_mul_f32 v[106:107], v[104:105], s[54:55]
	v_mov_b32_e32 v57, v56
	v_pk_fma_f32 v[108:109], v[102:103], s[52:53], v[106:107]
	s_mov_b32 s56, s29
	s_mov_b32 s57, s26
	v_pk_add_f32 v[70:71], v[70:71], v[108:109]
	v_mov_b32_e32 v108, v58
	v_mov_b32_e32 v109, v58
	s_mov_b32 s54, s18
	s_mov_b32 s55, s8
	v_pk_mul_f32 v[110:111], v[56:57], s[56:57]
	s_mov_b32 s58, s26
	v_pk_fma_f32 v[112:113], v[108:109], s[54:55], v[110:111]
	s_mov_b32 s59, s31
	v_pk_add_f32 v[70:71], v[112:113], v[70:71]
	ds_write2_b32 v59, v70, v71 offset0:4 offset1:5
	s_mov_b32 s56, s8
	s_mov_b32 s57, s24
	v_pk_mul_f32 v[70:71], v[90:91], s[58:59]
	s_mov_b32 s58, s25
	s_mov_b32 s59, s9
	v_pk_fma_f32 v[90:91], v[74:75], s[56:57], v[70:71]
	s_mov_b32 s62, s21
	s_mov_b32 s63, s22
	v_pk_add_f32 v[90:91], v[66:67], v[90:91]
	v_pk_fma_f32 v[112:113], v[82:83], s[58:59], v[60:61]
	s_mov_b32 s60, s19
	s_mov_b32 s61, s12
	v_pk_mul_f32 v[64:65], v[64:65], s[62:63]
	s_mov_b32 s66, s31
	v_pk_add_f32 v[90:91], v[112:113], v[90:91]
	v_pk_fma_f32 v[112:113], v[84:85], s[60:61], v[64:65]
	s_mov_b32 s62, s24
	s_mov_b32 s63, s8
	v_pk_mul_f32 v[78:79], v[78:79], s[66:67]
	s_mov_b32 s65, s21
	v_pk_add_f32 v[90:91], v[112:113], v[90:91]
	v_pk_fma_f32 v[112:113], v[86:87], s[62:63], v[78:79]
	s_mov_b32 s13, s19
	v_pk_mul_f32 v[92:93], v[92:93], s[64:65]
	s_mov_b32 s66, s20
	s_mov_b32 s67, s28
	v_pk_add_f32 v[90:91], v[112:113], v[90:91]
	v_pk_fma_f32 v[112:113], v[88:89], s[12:13], v[92:93]
	s_mov_b32 s64, s18
	s_mov_b32 s65, s14
	v_pk_mul_f32 v[98:99], v[98:99], s[66:67]
	v_pk_add_f32 v[90:91], v[90:91], v[112:113]
	v_pk_fma_f32 v[112:113], v[96:97], s[64:65], v[98:99]
	s_mov_b32 s15, s18
	v_pk_mul_f32 v[104:105], v[104:105], s[28:29]
	v_pk_add_f32 v[90:91], v[112:113], v[90:91]
	v_pk_fma_f32 v[112:113], v[102:103], s[14:15], v[104:105]
	s_mov_b32 s68, s30
	s_mov_b32 s69, s7
	v_pk_add_f32 v[90:91], v[90:91], v[112:113]
	s_mov_b32 s66, s9
	s_mov_b32 s67, s25
	v_pk_mul_f32 v[112:113], v[56:57], s[68:69]
	v_mul_f32_e32 v0, 0xbf7ba420, v53
	v_pk_fma_f32 v[114:115], v[108:109], s[66:67], v[112:113]
	v_mul_f32_e32 v30, 0xbe3c28d5, v55
	v_pk_add_f32 v[90:91], v[114:115], v[90:91]
	ds_write2_b32 v59, v90, v91 offset0:6 offset1:7
	v_pk_add_f32 v[90:91], v[0:1], v[30:31]
	v_pk_add_f32 v[114:115], v[0:1], v[30:31] neg_lo:[0,1] neg_hi:[0,1]
	v_mul_f32_e32 v0, 0x3f6eb680, v52
	v_mul_f32_e32 v30, 0x3eb8f4ab, v54
	v_mov_b32_e32 v91, v114
	v_pk_add_f32 v[52:53], v[0:1], v[30:31]
	v_pk_add_f32 v[54:55], v[0:1], v[30:31] neg_lo:[0,1] neg_hi:[0,1]
	v_mul_f32_e32 v0, 0xbf59a7d5, v49
	v_mov_b32_e32 v53, v54
	v_pk_add_f32 v[54:55], v[66:67], v[90:91]
	v_mul_f32_e32 v30, 0xbf06c442, v51
	v_pk_add_f32 v[52:53], v[52:53], v[54:55]
	v_pk_add_f32 v[54:55], v[0:1], v[30:31]
	v_pk_add_f32 v[90:91], v[0:1], v[30:31] neg_lo:[0,1] neg_hi:[0,1]
	v_mul_f32_e32 v0, 0x3f3d2fb0, v48
	v_mul_f32_e32 v30, 0x3f2c7751, v50
	v_mov_b32_e32 v55, v90
	v_pk_add_f32 v[48:49], v[0:1], v[30:31]
	v_pk_add_f32 v[50:51], v[0:1], v[30:31] neg_lo:[0,1] neg_hi:[0,1]
	v_pk_add_f32 v[52:53], v[54:55], v[52:53]
	v_mov_b32_e32 v49, v50
	v_mul_f32_e32 v0, 0xbf1a4643, v44
	v_mul_f32_e32 v30, 0xbf4c4adb, v46
	v_pk_add_f32 v[48:49], v[48:49], v[52:53]
	v_pk_add_f32 v[50:51], v[0:1], v[30:31]
	v_pk_add_f32 v[52:53], v[0:1], v[30:31] neg_lo:[0,1] neg_hi:[0,1]
	v_mul_f32_e32 v0, 0x3ee437d1, v45
	v_mul_f32_e32 v30, 0x3f65296c, v47
	v_mov_b32_e32 v51, v52
	v_pk_add_f32 v[44:45], v[0:1], v[30:31]
	v_pk_add_f32 v[46:47], v[0:1], v[30:31] neg_lo:[0,1] neg_hi:[0,1]
	v_pk_add_f32 v[48:49], v[48:49], v[50:51]
	v_mov_b32_e32 v45, v46
	v_mul_f32_e32 v0, 0xbe8c1d8e, v28
	v_mul_f32_e32 v30, 0xbf763a35, v23
	v_pk_add_f32 v[44:45], v[44:45], v[48:49]
	v_pk_add_f32 v[46:47], v[0:1], v[30:31]
	v_pk_add_f32 v[48:49], v[0:1], v[30:31] neg_lo:[0,1] neg_hi:[0,1]
	v_mul_f32_e32 v0, 0x3dbcf732, v58
	v_mov_b32_e32 v47, v48
	v_mul_f32_e32 v30, 0x3f7ee86f, v56
	v_pk_add_f32 v[44:45], v[44:45], v[46:47]
	v_pk_add_f32 v[46:47], v[0:1], v[30:31]
	v_pk_add_f32 v[48:49], v[0:1], v[30:31] neg_lo:[0,1] neg_hi:[0,1]
	v_sub_f32_e32 v0, v73, v72
	v_mov_b32_e32 v47, v48
	v_pk_add_f32 v[44:45], v[46:47], v[44:45]
	ds_write2_b32 v59, v44, v45 offset0:8 offset1:9
	v_pk_fma_f32 v[44:45], v[74:75], s[56:57], v[70:71] neg_lo:[0,0,1] neg_hi:[0,0,1]
	v_pk_fma_f32 v[46:47], v[82:83], s[58:59], v[60:61] neg_lo:[0,0,1] neg_hi:[0,0,1]
	v_pk_add_f32 v[44:45], v[66:67], v[44:45]
	v_fma_f32 v21, v58, s24, -v21
	v_pk_add_f32 v[44:45], v[46:47], v[44:45]
	v_pk_fma_f32 v[46:47], v[84:85], s[60:61], v[64:65] neg_lo:[0,0,1] neg_hi:[0,0,1]
	v_add_f32_e32 v0, v117, v0
	v_pk_add_f32 v[44:45], v[46:47], v[44:45]
	v_pk_fma_f32 v[46:47], v[86:87], s[62:63], v[78:79] neg_lo:[0,0,1] neg_hi:[0,0,1]
	v_add_f32_e32 v30, v21, v0
	v_pk_add_f32 v[44:45], v[46:47], v[44:45]
	v_pk_fma_f32 v[46:47], v[88:89], s[12:13], v[92:93] neg_lo:[0,0,1] neg_hi:[0,0,1]
	s_nop 0
	v_pk_add_f32 v[44:45], v[44:45], v[46:47]
	v_pk_fma_f32 v[46:47], v[96:97], s[64:65], v[98:99] neg_lo:[0,0,1] neg_hi:[0,0,1]
	s_nop 0
	v_pk_add_f32 v[44:45], v[46:47], v[44:45]
	v_pk_fma_f32 v[46:47], v[102:103], s[14:15], v[104:105] neg_lo:[0,0,1] neg_hi:[0,0,1]
	s_nop 0
	v_pk_add_f32 v[44:45], v[44:45], v[46:47]
	v_pk_fma_f32 v[46:47], v[108:109], s[66:67], v[112:113] neg_lo:[0,0,1] neg_hi:[0,0,1]
	s_nop 0
	v_pk_add_f32 v[44:45], v[46:47], v[44:45]
	ds_write2_b32 v59, v45, v44 offset0:10 offset1:11
	v_pk_fma_f32 v[44:45], v[74:75], s[40:41], v[68:69] neg_lo:[0,0,1] neg_hi:[0,0,1]
	v_pk_fma_f32 v[46:47], v[82:83], s[42:43], v[76:77] neg_lo:[0,0,1] neg_hi:[0,0,1]
	v_pk_add_f32 v[44:45], v[66:67], v[44:45]
	s_nop 0
	v_pk_add_f32 v[44:45], v[46:47], v[44:45]
	v_pk_fma_f32 v[46:47], v[84:85], s[44:45], v[62:63] neg_lo:[0,0,1] neg_hi:[0,0,1]
	s_nop 0
	v_pk_add_f32 v[44:45], v[46:47], v[44:45]
	v_pk_fma_f32 v[46:47], v[86:87], s[46:47], v[80:81] neg_lo:[0,0,1] neg_hi:[0,0,1]
	;; [unrolled: 3-line block ×6, first 2 shown]
	s_nop 0
	v_pk_add_f32 v[44:45], v[46:47], v[44:45]
	ds_write2_b32 v59, v45, v44 offset0:12 offset1:13
	ds_write_b32 v59, v30 offset:56
	ds_write2_b32 v59, v14, v15 offset0:15 offset1:16
	v_mov_b32_e32 v0, v45
	v_mov_b32_e32 v21, v44
.LBB0_13:
	s_or_b64 exec, exec, s[38:39]
	v_pk_add_f32 v[44:45], v[6:7], v[38:39]
	v_mov_b32_e32 v46, v38
	v_mov_b32_e32 v0, v45
	v_pk_add_f32 v[44:45], v[0:1], v[38:39]
	v_mov_b32_e32 v0, v43
	v_pk_add_f32 v[44:45], v[44:45], v[0:1]
	;; [unrolled: 2-line block ×3, first 2 shown]
	s_mov_b32 s38, s18
	v_pk_add_f32 v[48:49], v[44:45], v[34:35]
	v_pk_add_f32 v[44:45], v[24:25], v[40:41] neg_lo:[0,1] neg_hi:[0,1]
	v_mov_b32_e32 v24, v10
	v_mov_b32_e32 v25, v40
	v_pk_add_f32 v[64:65], v[46:47], v[24:25]
	v_pk_add_f32 v[40:41], v[46:47], v[24:25] neg_lo:[0,1] neg_hi:[0,1]
	v_mov_b32_e32 v24, v64
	v_mov_b32_e32 v25, v41
	s_mov_b32 s39, s20
	v_pk_mul_f32 v[100:101], v[24:25], s[38:39]
	v_mov_b32_e32 v24, v43
	v_mov_b32_e32 v25, v27
	;; [unrolled: 1-line block ×4, first 2 shown]
	v_pk_add_f32 v[70:71], v[24:25], v[46:47]
	v_pk_add_f32 v[46:47], v[24:25], v[46:47] neg_lo:[0,1] neg_hi:[0,1]
	v_mov_b32_e32 v24, v70
	v_mov_b32_e32 v25, v47
	s_mov_b32 s38, s9
	s_mov_b32 s39, s27
	v_pk_mul_f32 v[102:103], v[24:25], s[38:39]
	v_mov_b32_e32 v43, v26
	v_mov_b32_e32 v24, v8
	v_mov_b32_e32 v25, v36
	v_pk_add_f32 v[74:75], v[42:43], v[24:25]
	v_pk_add_f32 v[42:43], v[42:43], v[24:25] neg_lo:[0,1] neg_hi:[0,1]
	v_mov_b32_e32 v24, v74
	v_mov_b32_e32 v25, v43
	s_mov_b32 s13, s22
	v_pk_mul_f32 v[104:105], v[24:25], s[12:13]
	v_mov_b32_e32 v24, v34
	v_mov_b32_e32 v25, v18
	;; [unrolled: 1-line block ×4, first 2 shown]
	v_pk_add_f32 v[76:77], v[24:25], v[26:27]
	v_pk_add_f32 v[50:51], v[24:25], v[26:27] neg_lo:[0,1] neg_hi:[0,1]
	v_mov_b32_e32 v18, v35
	v_mov_b32_e32 v32, v5
	;; [unrolled: 1-line block ×4, first 2 shown]
	s_mov_b32 s38, s25
	s_mov_b32 s39, s7
	v_pk_add_f32 v[78:79], v[18:19], v[32:33]
	v_pk_add_f32 v[52:53], v[18:19], v[32:33] neg_lo:[0,1] neg_hi:[0,1]
	v_pk_mul_f32 v[108:109], v[24:25], s[38:39]
	v_mov_b32_e32 v18, v78
	v_mov_b32_e32 v19, v53
	s_mov_b32 s38, s8
	s_mov_b32 s39, s26
	v_pk_mul_f32 v[112:113], v[18:19], s[38:39]
	v_mov_b32_e32 v18, v29
	v_mov_b32_e32 v19, v22
	s_mov_b32 s38, s24
	s_mov_b32 s39, s31
	v_pk_mul_f32 v[114:115], v[18:19], s[38:39]
	v_mov_b32_e32 v49, v39
	v_mov_b32_e32 v18, v35
	;; [unrolled: 1-line block ×3, first 2 shown]
	v_pk_add_f32 v[80:81], v[48:49], v[18:19]
	v_mov_b32_e32 v111, 0x3f6eb680
	v_mov_b32_e32 v110, v31
	v_pk_mul_f32 v[106:107], v[80:81], v[110:111]
	v_add_f32_e32 v0, v100, v101
	v_fmamk_f32 v18, v45, 0xbeb8f4ab, v107
	v_add_f32_e32 v18, v7, v18
	v_add_f32_e32 v21, v102, v103
	;; [unrolled: 1-line block ×7, first 2 shown]
	s_mov_b32 s38, s20
	s_mov_b32 s39, s27
	v_add_f32_e32 v25, v112, v113
	v_add_f32_e32 v0, v0, v24
	v_mov_b32_e32 v21, v6
	v_pk_mul_f32 v[82:83], v[44:45], s[38:39] op_sel:[1,0]
	s_mov_b32 s13, s8
	s_mov_b32 s23, s26
	;; [unrolled: 1-line block ×4, first 2 shown]
	v_add_f32_e32 v0, v25, v0
	v_add_f32_e32 v18, v114, v115
	v_pk_add_f32 v[38:39], v[2:3], v[20:21]
	v_pk_add_f32 v[48:49], v[2:3], v[20:21] neg_lo:[0,1] neg_hi:[0,1]
	v_pk_mul_f32 v[86:87], v[40:41], s[22:23] op_sel:[1,0]
	s_mov_b32 s27, 0x3e3c28d5
	v_pk_fma_f32 v[34:35], v[80:81], s[8:9], v[82:83] op_sel:[1,0,0]
	v_add_f32_e32 v0, v0, v18
	v_mov_b32_e32 v18, v39
	v_mov_b32_e32 v19, v48
	s_mov_b32 s15, s28
	s_mov_b32 s39, s14
	v_pk_mul_f32 v[88:89], v[46:47], s[26:27] op_sel:[1,0]
	s_mov_b32 s29, s34
	v_pk_fma_f32 v[20:21], v[64:65], s[12:13], v[86:87] op_sel_hi:[0,1,1]
	v_pk_add_f32 v[34:35], v[6:7], v[34:35] op_sel:[1,0]
	v_pk_mul_f32 v[84:85], v[18:19], s[14:15]
	s_mov_b32 s15, s25
	v_pk_mul_f32 v[90:91], v[42:43], s[28:29] op_sel:[1,0]
	s_mov_b32 s7, 0x3f2c7751
	v_pk_fma_f32 v[24:25], v[70:71], s[38:39], v[88:89] op_sel_hi:[0,1,1]
	v_pk_add_f32 v[20:21], v[20:21], v[34:35]
	s_mov_b32 s28, s24
	s_mov_b32 s29, s18
	v_pk_mul_f32 v[92:93], v[50:51], s[6:7] op_sel:[1,0]
	s_mov_b32 s35, s21
	v_pk_fma_f32 v[26:27], v[74:75], s[14:15], v[90:91] op_sel_hi:[0,1,1]
	v_pk_add_f32 v[20:21], v[24:25], v[20:21]
	s_mov_b32 s40, s25
	s_mov_b32 s41, s19
	v_pk_mul_f32 v[96:97], v[52:53], s[34:35] op_sel:[1,0]
	s_mov_b32 s20, s30
	s_mov_b32 s21, s22
	v_pk_fma_f32 v[30:31], v[76:77], s[28:29], v[92:93] op_sel_hi:[0,1,1]
	v_pk_add_f32 v[20:21], v[26:27], v[20:21]
	s_mov_b32 s26, s9
	s_mov_b32 s27, s12
	v_pk_mul_f32 v[94:95], v[22:23], s[20:21] op_sel_hi:[0,1]
	v_pk_fma_f32 v[32:33], v[78:79], s[40:41], v[96:97] op_sel_hi:[0,1,1]
	v_pk_add_f32 v[20:21], v[20:21], v[30:31]
	v_lshl_add_u32 v118, v116, 2, 0
	v_pk_add_f32 v[20:21], v[32:33], v[20:21]
	v_pk_fma_f32 v[24:25], v[28:29], s[26:27], v[94:95] op_sel:[1,0,0]
	v_add_u32_e32 v121, 0x600, v118
	v_add_u32_e32 v119, 0x1200, v118
	;; [unrolled: 1-line block ×6, first 2 shown]
	v_pk_add_f32 v[20:21], v[20:21], v[24:25]
	s_waitcnt lgkmcnt(0)
	s_barrier
	ds_read2_b32 v[26:27], v118 offset1:119
	ds_read2_b32 v[24:25], v121 offset0:92 offset1:211
	ds_read2_b32 v[32:33], v119 offset0:38 offset1:157
	;; [unrolled: 1-line block ×3, first 2 shown]
	v_lshl_add_u32 v18, v117, 2, 0
	ds_read2_b32 v[34:35], v120 offset0:20 offset1:139
	v_lshl_add_u32 v124, v128, 2, 0
	ds_read_b32 v127, v118 offset:6664
	ds_read_b32 v126, v18
	ds_read_b32 v125, v124
	v_add_u32_e32 v123, 0xe00, v118
	ds_read2_b32 v[36:37], v123 offset0:56 offset1:175
	s_mov_b32 s37, s31
	s_mov_b32 s20, s19
	;; [unrolled: 1-line block ×3, first 2 shown]
	v_pk_mul_f32 v[98:99], v[48:49], s[36:37] op_sel_hi:[0,1]
	v_add_f32_e32 v2, v84, v85
	v_pk_fma_f32 v[54:55], v[38:39], s[20:21], v[98:99] op_sel:[1,0,0]
	v_add_f32_e32 v19, v2, v0
	v_pk_add_f32 v[20:21], v[54:55], v[20:21]
	s_waitcnt lgkmcnt(0)
	s_barrier
	s_and_saveexec_b64 s[18:19], s[0:1]
	s_cbranch_execz .LBB0_15
; %bb.14:
	v_mov_b32_e32 v2, v3
	v_mul_f32_e32 v131, 0xbeb8f4ab, v45
	v_pk_add_f32 v[110:111], v[80:81], v[110:111]
	v_mov_b32_e32 v130, v3
	v_mov_b32_e32 v23, v100
	v_pk_add_f32 v[2:3], v[110:111], v[2:3]
	v_pk_add_f32 v[106:107], v[106:107], v[130:131] neg_lo:[0,1] neg_hi:[0,1]
	v_pk_add_f32 v[100:101], v[22:23], v[100:101] neg_lo:[0,1] neg_hi:[0,1]
	v_mov_b32_e32 v23, v102
	v_mov_b32_e32 v3, v107
	v_pk_add_f32 v[102:103], v[22:23], v[102:103] neg_lo:[0,1] neg_hi:[0,1]
	v_mov_b32_e32 v23, v104
	v_pk_add_f32 v[2:3], v[2:3], v[6:7]
	v_mov_b32_e32 v100, v1
	v_pk_add_f32 v[104:105], v[22:23], v[104:105] neg_lo:[0,1] neg_hi:[0,1]
	v_mov_b32_e32 v23, v108
	v_pk_add_f32 v[2:3], v[2:3], v[100:101]
	;; [unrolled: 4-line block ×4, first 2 shown]
	v_mov_b32_e32 v108, v8
	v_pk_add_f32 v[114:115], v[22:23], v[114:115] neg_lo:[0,1] neg_hi:[0,1]
	v_mul_f32_e32 v0, 0xbe3c28d5, v45
	v_pk_add_f32 v[2:3], v[108:109], v[2:3]
	v_mov_b32_e32 v112, v9
	v_mov_b32_e32 v1, v84
	v_pk_mul_f32 v[142:143], v[80:81], s[8:9] op_sel:[1,0]
	v_pk_add_f32 v[2:3], v[112:113], v[2:3]
	v_mov_b32_e32 v114, v10
	v_pk_add_f32 v[84:85], v[0:1], v[84:85] neg_lo:[0,1] neg_hi:[0,1]
	v_pk_mul_f32 v[132:133], v[64:65], s[12:13] op_sel_hi:[0,1]
	v_mov_b32_e32 v54, v7
	v_mov_b32_e32 v55, v7
	v_pk_add_f32 v[2:3], v[114:115], v[2:3]
	v_mov_b32_e32 v84, v11
	v_pk_add_f32 v[82:83], v[142:143], v[82:83] neg_lo:[0,1] neg_hi:[0,1]
	v_pk_mul_f32 v[134:135], v[70:71], s[38:39] op_sel_hi:[0,1]
	v_pk_add_f32 v[2:3], v[84:85], v[2:3]
	v_pk_add_f32 v[84:85], v[132:133], v[86:87] neg_lo:[0,1] neg_hi:[0,1]
	v_pk_add_f32 v[82:83], v[54:55], v[82:83]
	v_pk_mul_f32 v[136:137], v[74:75], s[14:15] op_sel_hi:[0,1]
	v_pk_add_f32 v[86:87], v[134:135], v[88:89] neg_lo:[0,1] neg_hi:[0,1]
	v_pk_add_f32 v[82:83], v[84:85], v[82:83]
	v_pk_mul_f32 v[138:139], v[76:77], s[28:29] op_sel_hi:[0,1]
	;; [unrolled: 3-line block ×3, first 2 shown]
	s_mov_b32 s30, 0x3eb8f4ab
	v_pk_add_f32 v[90:91], v[138:139], v[92:93] neg_lo:[0,1] neg_hi:[0,1]
	v_pk_add_f32 v[82:83], v[88:89], v[82:83]
	v_mov_b32_e32 v42, v43
	v_pk_mul_f32 v[144:145], v[28:29], s[26:27] op_sel:[1,0]
	s_mov_b32 s8, 0xbe3c28d5
	s_mov_b32 s31, 0xbf65296c
	v_pk_add_f32 v[92:93], v[140:141], v[96:97] neg_lo:[0,1] neg_hi:[0,1]
	v_pk_add_f32 v[82:83], v[82:83], v[90:91]
	v_mov_b32_e32 v50, v51
	v_pk_mul_f32 v[130:131], v[38:39], s[20:21] op_sel:[1,0]
	v_pk_add_f32 v[82:83], v[92:93], v[82:83]
	v_pk_add_f32 v[84:85], v[144:145], v[94:95] neg_lo:[0,1] neg_hi:[0,1]
	v_pk_mul_f32 v[94:95], v[42:43], s[30:31]
	s_mov_b32 s30, s31
	s_mov_b32 s31, s8
	v_mov_b32_e32 v44, v45
	s_mov_b32 s20, 0xbe8c1d8e
	s_mov_b32 s27, 0xbf763a35
	v_pk_add_f32 v[82:83], v[82:83], v[84:85]
	v_pk_add_f32 v[84:85], v[130:131], v[98:99] neg_lo:[0,1] neg_hi:[0,1]
	s_mov_b32 s26, 0xbf7ee86f
	v_pk_mul_f32 v[98:99], v[50:51], s[30:31]
	s_mov_b32 s31, 0x3dbcf732
	v_mov_b32_e32 v40, v41
	v_mov_b32_e32 v72, v81
	;; [unrolled: 1-line block ×3, first 2 shown]
	s_mov_b32 s21, 0x3f3d2fb0
	v_pk_add_f32 v[82:83], v[84:85], v[82:83]
	v_pk_mul_f32 v[84:85], v[44:45], s[26:27]
	s_mov_b32 s9, 0x3f06c442
	s_mov_b32 s36, s31
	;; [unrolled: 1-line block ×3, first 2 shown]
	v_mov_b32_e32 v56, v64
	v_mov_b32_e32 v57, v64
	;; [unrolled: 1-line block ×3, first 2 shown]
	s_mov_b32 s1, 0xbf59a7d5
	s_mov_b32 s0, 0xbf7ba420
	v_pk_mul_f32 v[86:87], v[40:41], s[8:9]
	s_mov_b32 s6, 0x3f763a35
	v_pk_fma_f32 v[108:109], v[72:73], s[36:37], v[84:85] neg_lo:[0,0,1] neg_hi:[0,0,1]
	v_mov_b32_e32 v58, v70
	v_mov_b32_e32 v59, v70
	s_mov_b32 s12, 0x3f6eb680
	v_pk_fma_f32 v[88:89], v[56:57], s[0:1], v[86:87] neg_lo:[0,0,1] neg_hi:[0,0,1]
	v_pk_mul_f32 v[90:91], v[46:47], s[6:7]
	v_pk_add_f32 v[108:109], v[54:55], v[108:109]
	v_mov_b32_e32 v60, v74
	v_mov_b32_e32 v61, v74
	s_mov_b32 s13, 0x3ee437d1
	s_mov_b32 s24, 0xbf06c442
	v_pk_fma_f32 v[92:93], v[58:59], s[20:21], v[90:91] neg_lo:[0,0,1] neg_hi:[0,0,1]
	v_pk_add_f32 v[88:89], v[88:89], v[108:109]
	v_mov_b32_e32 v62, v76
	v_mov_b32_e32 v63, v76
	;; [unrolled: 1-line block ×3, first 2 shown]
	s_mov_b32 s25, 0x3f7ee86f
	v_pk_fma_f32 v[96:97], v[60:61], s[12:13], v[94:95] neg_lo:[0,0,1] neg_hi:[0,0,1]
	s_mov_b32 s34, s13
	s_mov_b32 s35, s0
	v_pk_add_f32 v[88:89], v[92:93], v[88:89]
	v_mov_b32_e32 v66, v78
	v_mov_b32_e32 v67, v78
	;; [unrolled: 1-line block ×3, first 2 shown]
	v_pk_fma_f32 v[102:103], v[62:63], s[34:35], v[98:99] neg_lo:[0,0,1] neg_hi:[0,0,1]
	s_mov_b32 s30, s1
	v_pk_mul_f32 v[104:105], v[52:53], s[24:25]
	v_pk_add_f32 v[88:89], v[96:97], v[88:89]
	s_mov_b32 s39, 0xbeb8f4ab
	s_mov_b32 s38, 0x3f4c4adb
	v_pk_fma_f32 v[84:85], v[72:73], s[36:37], v[84:85]
	v_mov_b32_e32 v68, v29
	v_mov_b32_e32 v69, v29
	s_mov_b32 s14, 0xbf1a4643
	v_pk_fma_f32 v[106:107], v[66:67], s[30:31], v[104:105] neg_lo:[0,0,1] neg_hi:[0,0,1]
	v_pk_add_f32 v[88:89], v[88:89], v[102:103]
	s_mov_b32 s15, s12
	v_pk_mul_f32 v[92:93], v[22:23], s[38:39]
	v_pk_fma_f32 v[86:87], v[56:57], s[0:1], v[86:87]
	v_pk_add_f32 v[84:85], v[54:55], v[84:85]
	v_mov_b32_e32 v49, v48
	s_mov_b32 s29, 0xbf4c4adb
	v_pk_add_f32 v[88:89], v[106:107], v[88:89]
	v_pk_fma_f32 v[96:97], v[68:69], s[14:15], v[92:93] neg_lo:[0,0,1] neg_hi:[0,0,1]
	s_mov_b32 s28, s7
	v_pk_fma_f32 v[90:91], v[58:59], s[20:21], v[90:91]
	v_pk_add_f32 v[84:85], v[86:87], v[84:85]
	v_mov_b32_e32 v110, v39
	v_mov_b32_e32 v111, v39
	v_pk_add_f32 v[88:89], v[88:89], v[96:97]
	s_mov_b32 s40, s21
	s_mov_b32 s41, s14
	v_pk_mul_f32 v[96:97], v[48:49], s[28:29]
	v_pk_fma_f32 v[94:95], v[60:61], s[12:13], v[94:95]
	v_pk_add_f32 v[84:85], v[90:91], v[84:85]
	v_pk_fma_f32 v[102:103], v[110:111], s[40:41], v[96:97] neg_lo:[0,0,1] neg_hi:[0,0,1]
	v_pk_fma_f32 v[98:99], v[62:63], s[34:35], v[98:99]
	v_pk_add_f32 v[84:85], v[94:95], v[84:85]
	v_pk_add_f32 v[88:89], v[102:103], v[88:89]
	v_pk_fma_f32 v[102:103], v[66:67], s[30:31], v[104:105]
	v_pk_add_f32 v[84:85], v[84:85], v[98:99]
	s_mov_b32 s28, s29
	s_mov_b32 s29, s24
	s_mov_b32 s23, 0x3f65296c
	v_pk_add_f32 v[84:85], v[102:103], v[84:85]
	v_pk_fma_f32 v[86:87], v[68:69], s[14:15], v[92:93]
	v_pk_mul_f32 v[44:45], v[44:45], s[28:29]
	s_mov_b32 s22, s6
	s_mov_b32 s15, s1
	v_mul_f32_e32 v6, 0x3eb8f4ab, v41
	v_pk_add_f32 v[84:85], v[84:85], v[86:87]
	v_pk_fma_f32 v[86:87], v[110:111], s[40:41], v[96:97]
	s_mov_b32 s28, s20
	s_mov_b32 s29, s13
	v_pk_mul_f32 v[40:41], v[40:41], s[22:23]
	s_mov_b32 s34, s39
	s_mov_b32 s35, s26
	v_pk_fma_f32 v[98:99], v[72:73], s[14:15], v[44:45] neg_lo:[0,0,1] neg_hi:[0,0,1]
	v_mul_f32_e32 v28, 0x3f6eb680, v64
	v_mul_f32_e32 v64, 0xbf06c442, v47
	v_pk_add_f32 v[84:85], v[86:87], v[84:85]
	v_pk_fma_f32 v[86:87], v[56:57], s[28:29], v[40:41] neg_lo:[0,0,1] neg_hi:[0,0,1]
	s_mov_b32 s30, s12
	v_pk_mul_f32 v[46:47], v[46:47], s[34:35]
	s_mov_b32 s36, s24
	s_mov_b32 s37, s38
	v_pk_add_f32 v[98:99], v[54:55], v[98:99]
	v_pk_fma_f32 v[44:45], v[72:73], s[14:15], v[44:45]
	v_mul_f32_e32 v38, 0xbf59a7d5, v70
	v_mul_f32_e32 v70, 0x3f3d2fb0, v74
	v_mul_f32_e32 v74, 0x3f2c7751, v43
	v_pk_fma_f32 v[90:91], v[58:59], s[30:31], v[46:47] neg_lo:[0,0,1] neg_hi:[0,0,1]
	s_mov_b32 s34, s1
	s_mov_b32 s35, s14
	v_pk_mul_f32 v[42:43], v[42:43], s[36:37]
	s_mov_b32 s38, s25
	v_pk_add_f32 v[86:87], v[86:87], v[98:99]
	v_pk_fma_f32 v[40:41], v[56:57], s[28:29], v[40:41]
	v_pk_add_f32 v[44:45], v[54:55], v[44:45]
	v_mul_f32_e32 v80, 0xbf4c4adb, v51
	v_pk_fma_f32 v[92:93], v[60:61], s[34:35], v[42:43] neg_lo:[0,0,1] neg_hi:[0,0,1]
	s_mov_b32 s36, s31
	s_mov_b32 s37, s12
	v_pk_mul_f32 v[50:51], v[50:51], s[38:39]
	s_mov_b32 s38, 0xbf2c7751
	s_mov_b32 s39, s8
	v_pk_add_f32 v[86:87], v[90:91], v[86:87]
	v_pk_fma_f32 v[46:47], v[58:59], s[30:31], v[46:47]
	v_pk_add_f32 v[40:41], v[40:41], v[44:45]
	v_mul_f32_e32 v100, 0x3f65296c, v53
	v_pk_fma_f32 v[94:95], v[62:63], s[36:37], v[50:51] neg_lo:[0,0,1] neg_hi:[0,0,1]
	s_mov_b32 s24, s21
	s_mov_b32 s25, s0
	v_pk_mul_f32 v[52:53], v[52:53], s[38:39]
	v_pk_add_f32 v[86:87], v[92:93], v[86:87]
	s_mov_b32 s9, s7
	v_pk_fma_f32 v[42:43], v[60:61], s[34:35], v[42:43]
	v_pk_add_f32 v[40:41], v[46:47], v[40:41]
	v_mul_f32_e32 v10, 0xbf763a35, v22
	v_pk_fma_f32 v[96:97], v[66:67], s[24:25], v[52:53] neg_lo:[0,0,1] neg_hi:[0,0,1]
	v_pk_add_f32 v[86:87], v[86:87], v[94:95]
	s_mov_b32 s1, s21
	v_pk_mul_f32 v[22:23], v[22:23], s[8:9]
	v_pk_fma_f32 v[50:51], v[62:63], s[36:37], v[50:51]
	v_pk_add_f32 v[40:41], v[42:43], v[40:41]
	v_pk_add_f32 v[86:87], v[96:97], v[86:87]
	v_pk_fma_f32 v[90:91], v[68:69], s[0:1], v[22:23] neg_lo:[0,0,1] neg_hi:[0,0,1]
	s_mov_b32 s26, s23
	v_pk_fma_f32 v[52:53], v[66:67], s[24:25], v[52:53]
	v_pk_add_f32 v[40:41], v[40:41], v[50:51]
	v_pk_add_f32 v[86:87], v[86:87], v[90:91]
	s_mov_b32 s6, s13
	s_mov_b32 s7, s20
	v_pk_mul_f32 v[90:91], v[48:49], s[26:27]
	v_pk_add_f32 v[40:41], v[52:53], v[40:41]
	v_pk_fma_f32 v[22:23], v[68:69], s[0:1], v[22:23]
	v_pk_add_f32 v[44:45], v[28:29], v[6:7] neg_lo:[0,1] neg_hi:[0,1]
	v_pk_add_f32 v[6:7], v[28:29], v[6:7]
	v_mul_f32_e32 v8, 0xbe8c1d8e, v29
	v_pk_add_f32 v[22:23], v[40:41], v[22:23]
	v_pk_fma_f32 v[40:41], v[110:111], s[6:7], v[90:91]
	v_mov_b32_e32 v45, v6
	v_pk_add_f32 v[6:7], v[38:39], v[64:65] neg_lo:[0,1] neg_hi:[0,1]
	v_pk_add_f32 v[28:29], v[38:39], v[64:65]
	v_mul_f32_e32 v76, 0xbf1a4643, v76
	v_pk_add_f32 v[22:23], v[40:41], v[22:23]
	v_mul_f32_e32 v40, 0x3dbcf732, v39
	v_mov_b32_e32 v7, v28
	v_pk_add_f32 v[28:29], v[70:71], v[74:75] neg_lo:[0,1] neg_hi:[0,1]
	v_pk_add_f32 v[38:39], v[70:71], v[74:75]
	v_mul_f32_e32 v78, 0x3ee437d1, v78
	v_mov_b32_e32 v29, v38
	v_pk_add_f32 v[38:39], v[76:77], v[80:81] neg_lo:[0,1] neg_hi:[0,1]
	v_pk_add_f32 v[46:47], v[76:77], v[80:81]
	v_mul_f32_e32 v4, 0xbf7ba420, v81
	v_mul_f32_e32 v42, 0x3f7ee86f, v48
	v_mov_b32_e32 v39, v46
	v_pk_add_f32 v[46:47], v[78:79], v[100:101] neg_lo:[0,1] neg_hi:[0,1]
	v_pk_add_f32 v[48:49], v[78:79], v[100:101]
	v_pk_fma_f32 v[92:93], v[110:111], s[6:7], v[90:91] neg_lo:[0,0,1] neg_hi:[0,0,1]
	v_mov_b32_e32 v47, v48
	v_pk_add_f32 v[48:49], v[4:5], v[0:1] neg_lo:[0,1] neg_hi:[0,1]
	v_pk_add_f32 v[0:1], v[4:5], v[0:1]
	v_pk_add_f32 v[4:5], v[8:9], v[10:11] neg_lo:[0,1] neg_hi:[0,1]
	v_mov_b32_e32 v49, v0
	v_pk_add_f32 v[0:1], v[54:55], v[48:49]
	v_pk_add_f32 v[86:87], v[92:93], v[86:87]
	;; [unrolled: 1-line block ×3, first 2 shown]
	s_nop 0
	v_pk_add_f32 v[0:1], v[6:7], v[0:1]
	v_pk_add_f32 v[6:7], v[8:9], v[10:11]
	;; [unrolled: 1-line block ×3, first 2 shown]
	v_mov_b32_e32 v5, v6
	v_pk_add_f32 v[0:1], v[0:1], v[38:39]
	v_pk_add_f32 v[6:7], v[40:41], v[42:43]
	;; [unrolled: 1-line block ×3, first 2 shown]
	s_nop 0
	v_pk_add_f32 v[0:1], v[0:1], v[4:5]
	v_pk_add_f32 v[4:5], v[40:41], v[42:43] neg_lo:[0,1] neg_hi:[0,1]
	s_nop 0
	v_mov_b32_e32 v5, v6
	v_pk_add_f32 v[0:1], v[4:5], v[0:1]
	v_lshl_add_u32 v4, v116, 6, v118
	ds_write2_b32 v4, v2, v3 offset1:1
	ds_write2_b32 v4, v82, v83 offset0:2 offset1:3
	ds_write2_b32 v4, v88, v89 offset0:4 offset1:5
	;; [unrolled: 1-line block ×7, first 2 shown]
	ds_write_b32 v4, v19 offset:64
.LBB0_15:
	s_or_b64 exec, exec, s[18:19]
	s_movk_i32 s0, 0xf1
	v_add_u32_e32 v65, 0x77, v116
	v_mul_lo_u16_sdwa v0, v116, s0 dst_sel:DWORD dst_unused:UNUSED_PAD src0_sel:BYTE_0 src1_sel:DWORD
	v_lshrrev_b16_e32 v54, 12, v0
	v_mul_lo_u16_sdwa v1, v65, s0 dst_sel:DWORD dst_unused:UNUSED_PAD src0_sel:BYTE_0 src1_sel:DWORD
	v_mul_lo_u16_e32 v0, 17, v54
	v_lshrrev_b16_e32 v56, 12, v1
	v_sub_u16_e32 v55, v116, v0
	v_mov_b32_e32 v0, 4
	v_mul_lo_u16_e32 v1, 17, v56
	v_lshlrev_b32_sdwa v8, v0, v55 dst_sel:DWORD dst_unused:UNUSED_PAD src0_sel:DWORD src1_sel:BYTE_0
	v_sub_u16_e32 v57, v65, v1
	s_mov_b32 s0, 0xf0f1
	s_load_dwordx2 s[6:7], s[2:3], 0x0
	s_waitcnt lgkmcnt(0)
	s_barrier
	v_lshlrev_b32_sdwa v9, v0, v57 dst_sel:DWORD dst_unused:UNUSED_PAD src0_sel:DWORD src1_sel:BYTE_0
	global_load_dwordx4 v[0:3], v8, s[4:5]
	global_load_dwordx4 v[4:7], v9, s[4:5]
	v_mul_u32_u24_sdwa v8, v117, s0 dst_sel:DWORD dst_unused:UNUSED_PAD src0_sel:WORD_0 src1_sel:DWORD
	v_lshrrev_b32_e32 v58, 20, v8
	v_mul_lo_u16_e32 v8, 17, v58
	v_mul_u32_u24_sdwa v9, v128, s0 dst_sel:DWORD dst_unused:UNUSED_PAD src0_sel:WORD_0 src1_sel:DWORD
	v_sub_u16_e32 v59, v117, v8
	v_lshrrev_b32_e32 v60, 20, v9
	v_lshlrev_b32_e32 v8, 4, v59
	v_mul_lo_u16_e32 v9, 17, v60
	v_sub_u16_e32 v61, v128, v9
	global_load_dwordx4 v[8:11], v8, s[4:5]
	v_add_u32_e32 v22, 0x1dc, v116
	v_lshlrev_b32_e32 v23, 4, v61
	global_load_dwordx4 v[38:41], v23, s[4:5]
	v_mul_u32_u24_sdwa v23, v22, s0 dst_sel:DWORD dst_unused:UNUSED_PAD src0_sel:WORD_0 src1_sel:DWORD
	v_lshrrev_b32_e32 v62, 20, v23
	v_mul_lo_u16_e32 v23, 17, v62
	v_sub_u16_e32 v63, v22, v23
	v_lshlrev_b32_e32 v22, 4, v63
	global_load_dwordx4 v[42:45], v22, s[4:5]
	ds_read2_b32 v[22:23], v118 offset1:119
	ds_read2_b32 v[28:29], v121 offset0:92 offset1:211
	ds_read2_b32 v[46:47], v119 offset0:38 offset1:157
	;; [unrolled: 1-line block ×4, first 2 shown]
	ds_read_b32 v64, v124
	ds_read2_b32 v[52:53], v123 offset0:56 offset1:175
	ds_read_b32 v66, v18
	ds_read_b32 v67, v118 offset:6664
	s_waitcnt lgkmcnt(0)
	s_barrier
	s_mov_b32 s1, 0x5040100
	s_movk_i32 s0, 0xcc
	v_cmp_lt_u32_e64 s[2:3], 16, v116
	s_waitcnt vmcnt(4)
	v_mul_f32_e32 v68, v29, v1
	v_mul_f32_e32 v69, v46, v3
	;; [unrolled: 1-line block ×4, first 2 shown]
	s_waitcnt vmcnt(3)
	v_mul_f32_e32 v70, v48, v5
	v_mul_f32_e32 v5, v30, v5
	v_fmac_f32_e32 v68, v25, v0
	v_fmac_f32_e32 v69, v32, v2
	v_fma_f32 v0, v29, v0, -v1
	v_fma_f32 v1, v46, v2, -v3
	;; [unrolled: 1-line block ×3, first 2 shown]
	s_waitcnt vmcnt(2)
	v_mul_f32_e32 v73, v50, v11
	v_mul_f32_e32 v11, v34, v11
	v_fma_f32 v5, v50, v10, -v11
	v_add_f32_e32 v11, v68, v69
	v_mul_f32_e32 v71, v47, v7
	v_fma_f32 v11, -0.5, v11, v26
	v_sub_f32_e32 v25, v0, v1
	v_mul_f32_e32 v7, v33, v7
	v_fmac_f32_e32 v70, v30, v4
	v_fmac_f32_e32 v71, v33, v6
	;; [unrolled: 1-line block ×3, first 2 shown]
	v_add_f32_e32 v10, v26, v68
	v_fmamk_f32 v26, v25, 0xbf5db3d7, v11
	v_fmac_f32_e32 v11, 0x3f5db3d7, v25
	v_add_f32_e32 v25, v22, v0
	v_add_f32_e32 v0, v0, v1
	v_fma_f32 v3, v47, v6, -v7
	v_add_f32_e32 v25, v25, v1
	v_fma_f32 v0, -0.5, v0, v22
	v_sub_f32_e32 v1, v68, v69
	v_add_f32_e32 v29, v70, v71
	v_mul_f32_e32 v72, v49, v9
	v_fmamk_f32 v22, v1, 0x3f5db3d7, v0
	v_fmac_f32_e32 v0, 0xbf5db3d7, v1
	v_add_f32_e32 v1, v27, v70
	v_fmac_f32_e32 v27, -0.5, v29
	v_sub_f32_e32 v29, v2, v3
	v_mul_f32_e32 v9, v31, v9
	v_fmac_f32_e32 v72, v31, v8
	v_fmamk_f32 v30, v29, 0xbf5db3d7, v27
	v_fmac_f32_e32 v27, 0x3f5db3d7, v29
	v_add_f32_e32 v29, v23, v2
	v_add_f32_e32 v2, v2, v3
	v_fma_f32 v4, v49, v8, -v9
	v_fmac_f32_e32 v23, -0.5, v2
	v_sub_f32_e32 v2, v70, v71
	v_add_f32_e32 v31, v72, v73
	s_waitcnt vmcnt(1)
	v_mul_f32_e32 v74, v52, v39
	v_mul_f32_e32 v75, v51, v41
	v_add_f32_e32 v29, v29, v3
	v_fmamk_f32 v3, v2, 0x3f5db3d7, v23
	v_fmac_f32_e32 v23, 0xbf5db3d7, v2
	v_add_f32_e32 v2, v126, v72
	v_fmac_f32_e32 v126, -0.5, v31
	v_sub_f32_e32 v31, v4, v5
	v_mul_f32_e32 v39, v36, v39
	v_mul_f32_e32 v41, v35, v41
	v_fmac_f32_e32 v74, v36, v38
	v_fmac_f32_e32 v75, v35, v40
	v_fmamk_f32 v32, v31, 0xbf5db3d7, v126
	v_fmac_f32_e32 v126, 0x3f5db3d7, v31
	v_add_f32_e32 v31, v66, v4
	v_add_f32_e32 v4, v4, v5
	v_fma_f32 v6, v52, v38, -v39
	v_fma_f32 v7, v51, v40, -v41
	v_fmac_f32_e32 v66, -0.5, v4
	v_sub_f32_e32 v4, v72, v73
	v_add_f32_e32 v33, v74, v75
	s_waitcnt vmcnt(0)
	v_mul_f32_e32 v76, v53, v43
	v_mul_f32_e32 v77, v67, v45
	v_add_f32_e32 v31, v31, v5
	v_fmamk_f32 v5, v4, 0x3f5db3d7, v66
	v_fmac_f32_e32 v66, 0xbf5db3d7, v4
	v_add_f32_e32 v4, v125, v74
	v_fmac_f32_e32 v125, -0.5, v33
	v_sub_f32_e32 v33, v6, v7
	v_mul_f32_e32 v43, v37, v43
	v_mul_f32_e32 v45, v127, v45
	v_fmac_f32_e32 v76, v37, v42
	v_fmac_f32_e32 v77, v127, v44
	v_fmamk_f32 v34, v33, 0xbf5db3d7, v125
	v_fmac_f32_e32 v125, 0x3f5db3d7, v33
	v_add_f32_e32 v33, v64, v6
	v_add_f32_e32 v6, v6, v7
	v_fma_f32 v8, v53, v42, -v43
	v_fma_f32 v9, v67, v44, -v45
	v_fmac_f32_e32 v64, -0.5, v6
	v_sub_f32_e32 v6, v74, v75
	v_add_f32_e32 v35, v76, v77
	v_add_f32_e32 v33, v33, v7
	v_fmamk_f32 v7, v6, 0x3f5db3d7, v64
	v_fmac_f32_e32 v64, 0xbf5db3d7, v6
	v_add_f32_e32 v6, v24, v76
	v_fmac_f32_e32 v24, -0.5, v35
	v_sub_f32_e32 v35, v8, v9
	v_fmamk_f32 v36, v35, 0xbf5db3d7, v24
	v_fmac_f32_e32 v24, 0x3f5db3d7, v35
	v_add_f32_e32 v35, v28, v8
	v_add_f32_e32 v8, v8, v9
	v_fmac_f32_e32 v28, -0.5, v8
	v_sub_f32_e32 v8, v76, v77
	v_mov_b32_e32 v49, 2
	v_add_f32_e32 v35, v35, v9
	v_fmamk_f32 v9, v8, 0x3f5db3d7, v28
	v_fmac_f32_e32 v28, 0xbf5db3d7, v8
	v_mul_u32_u24_e32 v8, 0xcc, v54
	v_lshlrev_b32_sdwa v37, v49, v55 dst_sel:DWORD dst_unused:UNUSED_PAD src0_sel:DWORD src1_sel:BYTE_0
	v_add_f32_e32 v10, v10, v69
	v_add3_u32 v8, 0, v8, v37
	ds_write2_b32 v8, v10, v26 offset1:17
	ds_write_b32 v8, v11 offset:136
	v_mul_u32_u24_e32 v10, 0xcc, v56
	v_lshlrev_b32_sdwa v11, v49, v57 dst_sel:DWORD dst_unused:UNUSED_PAD src0_sel:DWORD src1_sel:BYTE_0
	v_add_f32_e32 v1, v1, v71
	v_add3_u32 v26, 0, v10, v11
	ds_write2_b32 v26, v1, v30 offset1:17
	ds_write_b32 v26, v27 offset:136
	v_perm_b32 v1, v60, v58, s1
	v_pk_mul_lo_u16 v1, v1, s0 op_sel_hi:[1,0]
	v_lshlrev_b32_e32 v11, 2, v59
	v_and_b32_e32 v10, 0xfffc, v1
	v_add_f32_e32 v2, v2, v73
	v_add3_u32 v27, 0, v10, v11
	ds_write2_b32 v27, v2, v32 offset1:17
	ds_write_b32 v27, v126 offset:136
	v_lshrrev_b32_e32 v1, 16, v1
	v_lshlrev_b32_e32 v2, 2, v61
	v_add_f32_e32 v4, v4, v75
	v_add3_u32 v1, 0, v1, v2
	ds_write2_b32 v1, v4, v34 offset1:17
	ds_write_b32 v1, v125 offset:136
	v_mul_u32_u24_e32 v2, 0xcc, v62
	v_lshlrev_b32_e32 v4, 2, v63
	v_add_f32_e32 v6, v6, v77
	v_add3_u32 v2, 0, v2, v4
	s_movk_i32 s0, 0xa1
	ds_write2_b32 v2, v6, v36 offset1:17
	ds_write_b32 v2, v24 offset:136
	s_waitcnt lgkmcnt(0)
	s_barrier
	ds_read2_b32 v[10:11], v118 offset1:119
	ds_read2_b32 v[38:39], v122 offset0:74 offset1:193
	ds_read2_b32 v[40:41], v123 offset0:56 offset1:175
	;; [unrolled: 1-line block ×5, first 2 shown]
	ds_read_b32 v54, v124
	ds_read_b32 v74, v18
	ds_read_b32 v75, v118 offset:6664
	s_waitcnt lgkmcnt(0)
	s_barrier
	ds_write2_b32 v8, v25, v22 offset1:17
	ds_write_b32 v8, v0 offset:136
	ds_write2_b32 v26, v29, v3 offset1:17
	ds_write_b32 v26, v23 offset:136
	;; [unrolled: 2-line block ×5, first 2 shown]
	v_mul_lo_u16_sdwa v0, v116, s0 dst_sel:DWORD dst_unused:UNUSED_PAD src0_sel:BYTE_0 src1_sel:DWORD
	v_lshrrev_b16_e32 v76, 13, v0
	v_mul_lo_u16_e32 v0, 51, v76
	v_sub_u16_e32 v55, v116, v0
	v_mov_b32_e32 v0, 5
	v_lshlrev_b32_sdwa v1, v0, v55 dst_sel:DWORD dst_unused:UNUSED_PAD src0_sel:DWORD src1_sel:BYTE_0
	s_waitcnt lgkmcnt(0)
	s_barrier
	global_load_dwordx4 v[2:5], v1, s[4:5] offset:272
	global_load_dwordx4 v[6:9], v1, s[4:5] offset:288
	v_mul_lo_u16_sdwa v1, v65, s0 dst_sel:DWORD dst_unused:UNUSED_PAD src0_sel:BYTE_0 src1_sel:DWORD
	v_lshrrev_b16_e32 v77, 13, v1
	v_mul_lo_u16_e32 v1, 51, v77
	v_sub_u16_e32 v56, v65, v1
	v_lshlrev_b32_sdwa v0, v0, v56 dst_sel:DWORD dst_unused:UNUSED_PAD src0_sel:DWORD src1_sel:BYTE_0
	s_mov_b32 s0, 0xa0a1
	global_load_dwordx4 v[22:25], v0, s[4:5] offset:272
	global_load_dwordx4 v[26:29], v0, s[4:5] offset:288
	v_mul_u32_u24_sdwa v0, v117, s0 dst_sel:DWORD dst_unused:UNUSED_PAD src0_sel:WORD_0 src1_sel:DWORD
	v_lshrrev_b32_e32 v78, 21, v0
	v_mul_lo_u16_e32 v0, 51, v78
	v_sub_u16_e32 v79, v117, v0
	v_lshlrev_b32_e32 v0, 5, v79
	global_load_dwordx4 v[30:33], v0, s[4:5] offset:272
	global_load_dwordx4 v[34:37], v0, s[4:5] offset:288
	ds_read2_b32 v[0:1], v118 offset1:119
	ds_read_b32 v57, v124
	ds_read2_b32 v[52:53], v122 offset0:74 offset1:193
	ds_read2_b32 v[50:51], v123 offset0:56 offset1:175
	;; [unrolled: 1-line block ×5, first 2 shown]
	ds_read_b32 v48, v18
	ds_read_b32 v80, v118 offset:6664
	v_lshlrev_b32_sdwa v81, v49, v55 dst_sel:DWORD dst_unused:UNUSED_PAD src0_sel:DWORD src1_sel:BYTE_0
	s_mov_b32 s0, 0x3e9e377a
	s_mov_b32 s1, 0x3f167918
	s_waitcnt lgkmcnt(0)
	s_barrier
	s_waitcnt vmcnt(5)
	v_mul_f32_e32 v63, v57, v3
	v_mul_f32_e32 v3, v54, v3
	v_fmac_f32_e32 v63, v54, v2
	v_fma_f32 v57, v57, v2, -v3
	v_mul_f32_e32 v2, v38, v5
	v_fma_f32 v59, v52, v4, -v2
	s_waitcnt vmcnt(4)
	v_mul_f32_e32 v2, v41, v7
	v_fma_f32 v60, v51, v6, -v2
	v_mul_f32_e32 v2, v42, v9
	v_fma_f32 v62, v68, v8, -v2
	s_waitcnt vmcnt(3)
	v_mul_f32_e32 v55, v70, v23
	v_mul_f32_e32 v2, v44, v23
	;; [unrolled: 1-line block ×4, first 2 shown]
	v_fmac_f32_e32 v55, v44, v22
	v_fma_f32 v51, v70, v22, -v2
	s_waitcnt vmcnt(1)
	v_mul_f32_e32 v3, v45, v31
	s_waitcnt vmcnt(0)
	v_mul_f32_e32 v22, v75, v37
	v_fmac_f32_e32 v64, v38, v4
	v_lshlrev_b32_sdwa v38, v49, v56 dst_sel:DWORD dst_unused:UNUSED_PAD src0_sel:DWORD src1_sel:BYTE_0
	v_mul_f32_e32 v2, v39, v25
	v_fma_f32 v49, v71, v30, -v3
	v_mul_f32_e32 v4, v50, v33
	v_mul_f32_e32 v3, v50, v32
	v_fma_f32 v50, v80, v36, -v22
	v_add_f32_e32 v22, v10, v63
	v_fmac_f32_e32 v66, v41, v6
	v_mul_f32_e32 v67, v68, v9
	v_fma_f32 v52, v53, v24, -v2
	v_mul_f32_e32 v2, v46, v27
	v_add_f32_e32 v22, v22, v64
	v_fmac_f32_e32 v67, v42, v8
	v_mul_f32_e32 v56, v53, v25
	v_fma_f32 v53, v72, v26, -v2
	v_mul_f32_e32 v2, v43, v29
	v_add_f32_e32 v22, v22, v66
	v_mul_f32_e32 v61, v69, v29
	v_fma_f32 v54, v69, v28, -v2
	v_mul_f32_e32 v2, v71, v31
	v_add_f32_e32 v29, v22, v67
	v_add_f32_e32 v22, v64, v66
	v_fmac_f32_e32 v2, v45, v30
	v_fma_f32 v30, -0.5, v22, v10
	v_sub_f32_e32 v22, v57, v62
	v_fmac_f32_e32 v56, v39, v24
	v_fmamk_f32 v31, v22, 0xbf737871, v30
	v_sub_f32_e32 v23, v59, v60
	v_sub_f32_e32 v24, v63, v64
	;; [unrolled: 1-line block ×3, first 2 shown]
	v_fmac_f32_e32 v30, 0x3f737871, v22
	v_fmac_f32_e32 v31, 0xbf167918, v23
	v_add_f32_e32 v24, v24, v25
	v_fmac_f32_e32 v30, 0x3f167918, v23
	v_fmac_f32_e32 v31, 0x3e9e377a, v24
	;; [unrolled: 1-line block ×3, first 2 shown]
	v_add_f32_e32 v24, v63, v67
	v_fma_f32 v10, -0.5, v24, v10
	v_fmac_f32_e32 v4, v40, v32
	v_fmamk_f32 v32, v23, 0x3f737871, v10
	v_fmac_f32_e32 v10, 0xbf737871, v23
	v_mul_f32_e32 v58, v72, v27
	v_fmac_f32_e32 v32, 0xbf167918, v22
	v_fmac_f32_e32 v10, 0x3f167918, v22
	v_add_f32_e32 v22, v11, v55
	v_fmac_f32_e32 v58, v46, v26
	v_add_f32_e32 v22, v22, v56
	;; [unrolled: 2-line block ×3, first 2 shown]
	v_mul_f32_e32 v5, v40, v33
	v_mul_f32_e32 v6, v73, v35
	v_sub_f32_e32 v24, v64, v63
	v_sub_f32_e32 v25, v66, v67
	v_add_f32_e32 v33, v22, v61
	v_add_f32_e32 v22, v56, v58
	v_fmac_f32_e32 v6, v47, v34
	v_mul_f32_e32 v9, v73, v34
	v_add_f32_e32 v24, v24, v25
	v_fma_f32 v34, -0.5, v22, v11
	v_sub_f32_e32 v22, v51, v54
	v_mul_f32_e32 v7, v47, v35
	v_fmac_f32_e32 v32, 0x3e9e377a, v24
	v_fmac_f32_e32 v10, 0x3e9e377a, v24
	v_fmamk_f32 v35, v22, 0xbf737871, v34
	v_sub_f32_e32 v23, v52, v53
	v_sub_f32_e32 v24, v55, v56
	;; [unrolled: 1-line block ×3, first 2 shown]
	v_fmac_f32_e32 v34, 0x3f737871, v22
	v_fmac_f32_e32 v35, 0xbf167918, v23
	v_add_f32_e32 v24, v24, v25
	v_fmac_f32_e32 v34, 0x3f167918, v23
	v_fmac_f32_e32 v35, 0x3e9e377a, v24
	;; [unrolled: 1-line block ×3, first 2 shown]
	v_add_f32_e32 v24, v55, v61
	v_mul_f32_e32 v8, v80, v37
	v_fmac_f32_e32 v11, -0.5, v24
	v_fmac_f32_e32 v8, v75, v36
	v_fmamk_f32 v36, v23, 0x3f737871, v11
	v_fmac_f32_e32 v11, 0xbf737871, v23
	v_fmac_f32_e32 v36, 0xbf167918, v22
	;; [unrolled: 1-line block ×3, first 2 shown]
	v_add_f32_e32 v22, v74, v2
	v_add_f32_e32 v22, v22, v4
	v_sub_f32_e32 v24, v56, v55
	v_sub_f32_e32 v25, v58, v61
	v_add_f32_e32 v22, v22, v6
	v_add_f32_e32 v24, v24, v25
	;; [unrolled: 1-line block ×4, first 2 shown]
	v_pk_add_f32 v[42:43], v[2:3], v[4:5] neg_lo:[0,1] neg_hi:[0,1]
	v_pk_add_f32 v[46:47], v[8:9], v[6:7] neg_lo:[0,1] neg_hi:[0,1]
	v_fmac_f32_e32 v36, 0x3e9e377a, v24
	v_fmac_f32_e32 v11, 0x3e9e377a, v24
	v_fma_f32 v39, -0.5, v22, v74
	v_pk_add_f32 v[22:23], v[42:43], v[46:47]
	v_pk_add_f32 v[24:25], v[42:43], v[46:47] neg_lo:[0,1] neg_hi:[0,1]
	v_sub_f32_e32 v40, v49, v50
	v_mov_b32_e32 v24, v22
	v_fmamk_f32 v41, v40, 0xbf737871, v39
	v_pk_mul_f32 v[26:27], v[24:25], s[0:1]
	v_fmac_f32_e32 v39, 0x3f737871, v40
	v_sub_f32_e32 v3, v41, v27
	v_add_f32_e32 v9, v26, v3
	v_add_f32_e32 v3, v27, v39
	;; [unrolled: 1-line block ×4, first 2 shown]
	v_fmac_f32_e32 v74, -0.5, v3
	v_fmamk_f32 v24, v25, 0x3f737871, v74
	v_sub_f32_e32 v3, v4, v2
	v_sub_f32_e32 v5, v6, v8
	v_fmac_f32_e32 v74, 0xbf737871, v25
	v_fmac_f32_e32 v24, 0xbf167918, v40
	v_add_f32_e32 v3, v3, v5
	v_fmac_f32_e32 v74, 0x3f167918, v40
	v_lshlrev_b32_e32 v28, 2, v79
	v_fmac_f32_e32 v24, 0x3e9e377a, v3
	v_fmac_f32_e32 v74, 0x3e9e377a, v3
	v_mul_u32_u24_e32 v3, 0x3fc, v76
	v_mul_u32_u24_e32 v5, 0x3fc, v77
	;; [unrolled: 1-line block ×3, first 2 shown]
	v_add3_u32 v3, 0, v3, v81
	v_add3_u32 v5, 0, v5, v38
	;; [unrolled: 1-line block ×3, first 2 shown]
	ds_write2_b32 v3, v29, v31 offset1:51
	ds_write2_b32 v3, v32, v10 offset0:102 offset1:153
	ds_write_b32 v3, v30 offset:816
	ds_write2_b32 v5, v33, v35 offset1:51
	ds_write2_b32 v5, v36, v11 offset0:102 offset1:153
	ds_write_b32 v5, v34 offset:816
	;; [unrolled: 3-line block ×3, first 2 shown]
	v_add_u32_e32 v9, 0x200, v118
	s_waitcnt lgkmcnt(0)
	s_barrier
	ds_read2_b32 v[30:31], v118 offset1:119
	ds_read2_b32 v[32:33], v9 offset0:127 offset1:246
	ds_read2_b32 v[40:41], v121 offset0:126 offset1:245
	;; [unrolled: 1-line block ×6, first 2 shown]
	v_cmp_gt_u32_e64 s[0:1], 17, v116
                                        ; implicit-def: $vgpr24_vgpr25
	s_and_saveexec_b64 s[8:9], s[2:3]
	s_xor_b64 s[8:9], exec, s[8:9]
; %bb.16:
	v_mov_b64_e32 v[24:25], v[14:15]
; %bb.17:
	s_or_saveexec_b64 s[8:9], s[8:9]
                                        ; implicit-def: $vgpr28
                                        ; implicit-def: $vgpr27
	s_xor_b64 exec, exec, s[8:9]
	s_cbranch_execz .LBB0_19
; %bb.18:
	v_add_u32_e32 v9, 0x7b4, v118
	ds_read2_b32 v[14:15], v9 offset1:255
	v_add_u32_e32 v9, 0xfac, v118
	ds_read2_b32 v[26:27], v9 offset1:255
	v_add_u32_e32 v9, 0x17a4, v118
	ds_read_b32 v22, v18
	ds_read2_b32 v[28:29], v9 offset1:255
	s_waitcnt lgkmcnt(3)
	v_mov_b32_e32 v24, v14
	s_waitcnt lgkmcnt(2)
	v_mov_b32_e32 v25, v26
.LBB0_19:
	s_or_b64 exec, exec, s[8:9]
	v_add_f32_e32 v10, v59, v60
	v_fma_f32 v10, -0.5, v10, v0
	v_sub_f32_e32 v11, v63, v67
	v_fmamk_f32 v26, v11, 0x3f737871, v10
	v_sub_f32_e32 v42, v64, v66
	v_sub_f32_e32 v46, v57, v59
	;; [unrolled: 1-line block ×3, first 2 shown]
	v_fmac_f32_e32 v10, 0xbf737871, v11
	v_fmac_f32_e32 v26, 0x3f167918, v42
	v_add_f32_e32 v46, v46, v63
	v_fmac_f32_e32 v10, 0xbf167918, v42
	v_fmac_f32_e32 v26, 0x3e9e377a, v46
	v_fmac_f32_e32 v10, 0x3e9e377a, v46
	v_add_f32_e32 v46, v57, v62
	v_add_f32_e32 v9, v0, v57
	v_fma_f32 v0, -0.5, v46, v0
	v_add_f32_e32 v9, v9, v59
	v_fmamk_f32 v46, v42, 0xbf737871, v0
	v_sub_f32_e32 v57, v59, v57
	v_sub_f32_e32 v59, v60, v62
	v_fmac_f32_e32 v0, 0x3f737871, v42
	v_add_f32_e32 v42, v52, v53
	v_fmac_f32_e32 v46, 0x3f167918, v11
	v_add_f32_e32 v57, v57, v59
	v_fmac_f32_e32 v0, 0xbf167918, v11
	v_fma_f32 v42, -0.5, v42, v1
	v_sub_f32_e32 v55, v55, v61
	v_fmac_f32_e32 v46, 0x3e9e377a, v57
	v_fmac_f32_e32 v0, 0x3e9e377a, v57
	v_fmamk_f32 v57, v55, 0x3f737871, v42
	v_sub_f32_e32 v56, v56, v58
	v_sub_f32_e32 v58, v51, v52
	;; [unrolled: 1-line block ×3, first 2 shown]
	v_fmac_f32_e32 v42, 0xbf737871, v55
	v_fmac_f32_e32 v57, 0x3f167918, v56
	v_add_f32_e32 v58, v58, v59
	v_fmac_f32_e32 v42, 0xbf167918, v56
	v_add_f32_e32 v11, v1, v51
	v_fmac_f32_e32 v57, 0x3e9e377a, v58
	v_fmac_f32_e32 v42, 0x3e9e377a, v58
	v_add_f32_e32 v58, v51, v54
	v_add_f32_e32 v11, v11, v52
	v_fmac_f32_e32 v1, -0.5, v58
	v_sub_f32_e32 v51, v52, v51
	v_sub_f32_e32 v52, v53, v54
	v_fma_f32 v23, -0.5, v23, v48
	v_sub_f32_e32 v2, v2, v8
	v_fmamk_f32 v58, v56, 0xbf737871, v1
	v_add_f32_e32 v51, v51, v52
	v_fmac_f32_e32 v1, 0x3f737871, v56
	v_fmamk_f32 v8, v2, 0x3f737871, v23
	v_sub_f32_e32 v4, v4, v6
	v_sub_f32_e32 v6, v49, v43
	;; [unrolled: 1-line block ×3, first 2 shown]
	v_fmac_f32_e32 v23, 0xbf737871, v2
	v_fmac_f32_e32 v58, 0x3f167918, v55
	;; [unrolled: 1-line block ×4, first 2 shown]
	v_add_f32_e32 v6, v6, v52
	v_fmac_f32_e32 v23, 0xbf167918, v4
	v_fmac_f32_e32 v58, 0x3e9e377a, v51
	;; [unrolled: 1-line block ×3, first 2 shown]
	v_add_f32_e32 v51, v48, v49
	v_fmac_f32_e32 v8, 0x3e9e377a, v6
	v_fmac_f32_e32 v23, 0x3e9e377a, v6
	v_add_f32_e32 v6, v49, v50
	v_add_f32_e32 v51, v51, v43
	v_fmac_f32_e32 v48, -0.5, v6
	v_add_f32_e32 v9, v9, v60
	v_add_f32_e32 v51, v51, v47
	v_fmamk_f32 v6, v4, 0xbf737871, v48
	v_sub_f32_e32 v43, v43, v49
	v_sub_f32_e32 v47, v47, v50
	v_fmac_f32_e32 v48, 0x3f737871, v4
	v_add_f32_e32 v9, v9, v62
	v_add_f32_e32 v11, v11, v53
	v_fmac_f32_e32 v6, 0x3f167918, v2
	v_add_f32_e32 v43, v43, v47
	v_fmac_f32_e32 v48, 0xbf167918, v2
	v_add_f32_e32 v11, v11, v54
	v_add_f32_e32 v51, v51, v50
	v_fmac_f32_e32 v6, 0x3e9e377a, v43
	v_fmac_f32_e32 v48, 0x3e9e377a, v43
	s_waitcnt lgkmcnt(0)
	s_barrier
	ds_write2_b32 v3, v9, v26 offset1:51
	ds_write2_b32 v3, v46, v0 offset0:102 offset1:153
	ds_write_b32 v3, v10 offset:816
	ds_write2_b32 v5, v11, v57 offset1:51
	ds_write2_b32 v5, v58, v1 offset0:102 offset1:153
	ds_write_b32 v5, v42 offset:816
	;; [unrolled: 3-line block ×3, first 2 shown]
	v_add_u32_e32 v0, 0x200, v118
	s_waitcnt lgkmcnt(0)
	s_barrier
	ds_read2_b32 v[52:53], v0 offset0:127 offset1:246
	v_add_u32_e32 v0, 0x600, v118
	ds_read2_b32 v[60:61], v0 offset0:126 offset1:245
	v_add_u32_e32 v0, 0xa00, v118
	;; [unrolled: 2-line block ×5, first 2 shown]
	ds_read2_b32 v[50:51], v118 offset1:119
	ds_read2_b32 v[58:59], v0 offset0:122 offset1:241
                                        ; implicit-def: $vgpr42_vgpr43
	s_and_saveexec_b64 s[8:9], s[2:3]
	s_xor_b64 s[2:3], exec, s[8:9]
                                        ; implicit-def: $vgpr49
; %bb.20:
	v_mov_b64_e32 v[42:43], v[20:21]
                                        ; implicit-def: $vgpr18
                                        ; implicit-def: $vgpr118
; %bb.21:
	s_or_saveexec_b64 s[2:3], s[2:3]
                                        ; implicit-def: $vgpr48
                                        ; implicit-def: $vgpr47
	s_xor_b64 exec, exec, s[2:3]
	s_cbranch_execz .LBB0_23
; %bb.22:
	v_add_u32_e32 v0, 0x7b4, v118
	ds_read_b32 v23, v18
	ds_read2_b32 v[18:19], v0 offset1:255
	v_add_u32_e32 v0, 0xfac, v118
	ds_read2_b32 v[46:47], v0 offset1:255
	v_add_u32_e32 v0, 0x17a4, v118
	ds_read2_b32 v[48:49], v0 offset1:255
	s_waitcnt lgkmcnt(2)
	v_mov_b32_e32 v42, v18
	v_mov_b32_e32 v20, v18
	s_waitcnt lgkmcnt(1)
	v_mov_b32_e32 v43, v46
	s_or_b64 exec, exec, s[2:3]
	s_and_saveexec_b64 s[2:3], vcc
	s_cbranch_execz .LBB0_26
	s_branch .LBB0_24
.LBB0_23:
	s_or_b64 exec, exec, s[2:3]
	s_and_saveexec_b64 s[2:3], vcc
	s_cbranch_execz .LBB0_26
.LBB0_24:
	v_mul_u32_u24_e32 v0, 6, v65
	v_lshlrev_b32_e32 v18, 3, v0
	v_mul_u32_u24_e32 v8, 6, v116
	global_load_dwordx4 v[0:3], v18, s[4:5] offset:1904
	global_load_dwordx4 v[4:7], v18, s[4:5] offset:1936
	v_lshlrev_b32_e32 v21, 3, v8
	global_load_dwordx4 v[74:77], v21, s[4:5] offset:1904
	global_load_dwordx4 v[78:81], v21, s[4:5] offset:1936
	;; [unrolled: 1-line block ×4, first 2 shown]
	v_mul_lo_u32 v18, s7, v16
	v_mul_lo_u32 v21, s6, v17
	v_mad_u64_u32 v[16:17], s[2:3], s6, v16, 0
	v_mad_u64_u32 v[66:67], s[2:3], s16, v116, 0
	v_add_u32_e32 v93, 0xff, v116
	v_add_u32_e32 v94, 0x1fe, v116
	;; [unrolled: 1-line block ×4, first 2 shown]
	v_add3_u32 v17, v17, v21, v18
	v_mov_b32_e32 v18, v67
	v_mad_u64_u32 v[68:69], s[2:3], s16, v93, 0
	v_mad_u64_u32 v[70:71], s[2:3], s16, v94, 0
	;; [unrolled: 1-line block ×5, first 2 shown]
	v_lshl_add_u64 v[16:17], v[16:17], 3, s[10:11]
	v_mov_b32_e32 v18, v69
	v_mov_b32_e32 v26, v71
	v_mov_b32_e32 v46, v73
	v_mov_b32_e32 v92, v89
	v_mov_b32_e32 v67, v90
	v_lshl_add_u64 v[12:13], v[12:13], 3, v[16:17]
	v_mad_u64_u32 v[16:17], s[2:3], s17, v93, v[18:19]
	v_mad_u64_u32 v[90:91], s[2:3], s17, v94, v[26:27]
	;; [unrolled: 1-line block ×4, first 2 shown]
	v_mov_b32_e32 v69, v16
	v_mov_b32_e32 v71, v90
	;; [unrolled: 1-line block ×4, first 2 shown]
	v_lshl_add_u64 v[92:93], v[70:71], 3, v[12:13]
	v_lshl_add_u64 v[94:95], v[72:73], 3, v[12:13]
	v_mov_b32_e32 v118, v44
	v_mov_b32_e32 v119, v36
	v_add_u32_e32 v96, 0x3fc, v116
	v_mad_u64_u32 v[86:87], s[2:3], s16, v96, 0
	v_mov_b32_e32 v120, v40
	v_mov_b32_e32 v121, v34
	;; [unrolled: 1-line block ×5, first 2 shown]
	v_mad_u64_u32 v[96:97], s[2:3], s17, v96, v[64:65]
	v_mov_b32_e32 v87, v96
	s_mov_b32 s10, 0xbeae86e6
	s_mov_b32 s11, 0x3f08b237
	;; [unrolled: 1-line block ×5, first 2 shown]
	s_movk_i32 s9, 0x5fa
	s_mov_b32 s8, 0xbee1c552
	v_lshl_add_u64 v[98:99], v[66:67], 3, v[12:13]
	v_lshl_add_u64 v[90:91], v[68:69], 3, v[12:13]
	s_mov_b32 s14, 0x3f3bfb3b
	s_mov_b32 s18, 0xbf5ff5aa
	v_lshl_add_u64 v[86:87], v[86:87], 3, v[12:13]
	v_lshl_add_u64 v[88:89], v[88:89], 3, v[12:13]
	v_mov_b32_e32 v36, v45
	s_waitcnt vmcnt(3)
	v_mul_f32_e32 v21, v40, v77
	s_waitcnt vmcnt(2)
	v_mul_f32_e32 v18, v44, v79
	v_mul_f32_e32 v16, v45, v5
	;; [unrolled: 1-line block ×3, first 2 shown]
	s_waitcnt lgkmcnt(2)
	v_fma_f32 v102, v62, v78, -v18
	v_add_u32_e32 v18, 0x5fa, v116
	v_fma_f32 v70, v63, v4, -v16
	v_fma_f32 v72, v61, v2, -v17
	v_mad_u64_u32 v[110:111], s[2:3], s16, v18, 0
	v_add_f32_e32 v17, v72, v70
	v_mov_b32_e32 v16, v111
	v_mad_u64_u32 v[112:113], s[2:3], s17, v18, v[16:17]
	v_mov_b32_e32 v16, v79
	v_mov_b32_e32 v114, v79
	s_waitcnt vmcnt(0)
	v_mov_b32_e32 v79, v83
	v_mov_b32_e32 v111, v112
	;; [unrolled: 1-line block ×5, first 2 shown]
	v_pk_mul_f32 v[78:79], v[118:119], v[78:79]
	v_mul_f32_e32 v101, v38, v80
	v_pk_fma_f32 v[118:119], v[62:63], v[16:17], v[78:79]
	v_pk_fma_f32 v[78:79], v[112:113], v[114:115], v[78:79] neg_lo:[0,0,1] neg_hi:[0,0,1]
	v_mov_b32_e32 v16, v77
	v_mov_b32_e32 v114, v77
	;; [unrolled: 1-line block ×3, first 2 shown]
	v_fma_f32 v104, v60, v76, -v21
	v_mov_b32_e32 v112, v60
	v_mov_b32_e32 v113, v54
	;; [unrolled: 1-line block ×3, first 2 shown]
	v_pk_mul_f32 v[76:77], v[120:121], v[76:77]
	v_mov_b32_e32 v122, v83
	v_mov_b32_e32 v83, v81
	s_waitcnt lgkmcnt(0)
	v_fmac_f32_e32 v101, v58, v81
	v_pk_fma_f32 v[120:121], v[60:61], v[16:17], v[76:77]
	v_pk_fma_f32 v[76:77], v[112:113], v[114:115], v[76:77] neg_lo:[0,0,1] neg_hi:[0,0,1]
	v_mov_b32_e32 v114, v56
	v_mov_b32_e32 v115, v58
	;; [unrolled: 1-line block ×3, first 2 shown]
	v_pk_mul_f32 v[80:81], v[124:125], v[82:83]
	v_mul_f32_e32 v97, v32, v74
	v_pk_fma_f32 v[82:83], v[114:115], v[122:123], v[80:81]
	v_pk_fma_f32 v[80:81], v[114:115], v[122:123], v[80:81] neg_lo:[0,0,1] neg_hi:[0,0,1]
	v_mov_b32_e32 v114, v85
	v_mov_b32_e32 v122, v34
	;; [unrolled: 1-line block ×4, first 2 shown]
	v_fmac_f32_e32 v97, v52, v75
	v_mov_b32_e32 v83, v81
	v_mov_b32_e32 v80, v54
	;; [unrolled: 1-line block ×4, first 2 shown]
	v_pk_mul_f32 v[74:75], v[122:123], v[84:85]
	v_mov_b32_e32 v119, v79
	v_pk_fma_f32 v[84:85], v[80:81], v[114:115], v[74:75]
	v_pk_fma_f32 v[74:75], v[80:81], v[114:115], v[74:75] neg_lo:[0,0,1] neg_hi:[0,0,1]
	v_mov_b32_e32 v121, v77
	v_mov_b32_e32 v85, v75
	v_pk_add_f32 v[74:75], v[84:85], v[82:83]
	v_pk_add_f32 v[80:81], v[120:121], v[118:119]
	v_add_f32_e32 v107, v104, v102
	v_add_f32_e32 v108, v97, v101
	v_mov_b32_e32 v109, v81
	v_mov_b32_e32 v106, v74
	v_pk_add_f32 v[114:115], v[108:109], v[106:107] neg_lo:[0,1] neg_hi:[0,1]
	v_mov_b32_e32 v109, v75
	v_mov_b32_e32 v106, v80
	v_pk_add_f32 v[112:113], v[120:121], v[118:119] neg_lo:[0,1] neg_hi:[0,1]
	v_pk_add_f32 v[118:119], v[74:75], v[80:81] neg_lo:[0,1] neg_hi:[0,1]
	v_pk_add_f32 v[122:123], v[108:109], v[106:107]
	v_mov_b32_e32 v75, v81
	v_mov_b32_e32 v96, v77
	;; [unrolled: 1-line block ×5, first 2 shown]
	v_pk_add_f32 v[74:75], v[74:75], v[122:123]
	v_pk_add_f32 v[122:123], v[84:85], v[82:83] neg_lo:[0,1] neg_hi:[0,1]
	v_pk_add_f32 v[76:77], v[96:97], v[100:101] neg_lo:[0,1] neg_hi:[0,1]
	;; [unrolled: 1-line block ×3, first 2 shown]
	s_mov_b32 s2, 0x3f4a47b2
	v_mov_b32_e32 v82, v123
	v_mov_b32_e32 v83, v79
	;; [unrolled: 1-line block ×4, first 2 shown]
	s_mov_b32 s3, 0x3d64c772
	v_mov_b32_e32 v80, v30
	v_mov_b32_e32 v81, v50
	v_pk_add_f32 v[82:83], v[82:83], v[84:85] neg_lo:[0,1] neg_hi:[0,1]
	v_pk_add_f32 v[84:85], v[76:77], v[78:79] neg_lo:[0,1] neg_hi:[0,1]
	v_mov_b32_e32 v100, v76
	v_mov_b32_e32 v101, v79
	v_mov_b32_e32 v79, v112
	v_pk_mul_f32 v[114:115], v[114:115], s[2:3]
	s_mov_b32 s6, s3
	s_mov_b32 s7, s2
	v_pk_add_f32 v[80:81], v[80:81], v[74:75]
	v_pk_mul_f32 v[82:83], v[82:83], s[10:11]
	v_pk_add_f32 v[100:101], v[100:101], v[78:79]
	v_mov_b32_e32 v76, v123
	v_pk_mul_f32 v[120:121], v[118:119], s[6:7]
	v_pk_fma_f32 v[118:119], v[118:119], s[6:7], v[114:115]
	v_pk_fma_f32 v[74:75], v[74:75], s[20:21], v[80:81] op_sel_hi:[1,0,1] neg_lo:[1,0,0] neg_hi:[1,0,0]
	v_pk_mul_f32 v[96:97], v[84:85], s[12:13]
	v_pk_fma_f32 v[84:85], v[84:85], s[12:13], v[82:83]
	v_pk_add_f32 v[100:101], v[76:77], v[100:101]
	v_pk_add_f32 v[118:119], v[118:119], v[74:75]
	v_pk_fma_f32 v[84:85], v[100:101], s[8:9], v[84:85] op_sel_hi:[1,0,1]
	global_store_dwordx2 v[98:99], v[80:81], off
	v_pk_add_f32 v[102:103], v[118:119], v[84:85] neg_lo:[0,1] neg_hi:[0,1]
	v_pk_add_f32 v[84:85], v[118:119], v[84:85]
	v_mov_b32_e32 v81, v103
	v_mov_b32_e32 v80, v84
	global_store_dwordx2 v[90:91], v[80:81], off
	v_mov_b32_e32 v80, v114
	v_mov_b32_e32 v81, v121
	v_pk_add_f32 v[90:91], v[106:107], v[108:109] neg_lo:[0,1] neg_hi:[0,1]
	v_pk_add_f32 v[76:77], v[78:79], v[76:77] neg_lo:[0,1] neg_hi:[0,1]
	v_mov_b32_e32 v78, v82
	v_mov_b32_e32 v79, v97
	v_pk_fma_f32 v[80:81], v[90:91], s[14:15], v[80:81] op_sel_hi:[1,0,1] neg_lo:[1,0,1] neg_hi:[1,0,1]
	v_pk_fma_f32 v[78:79], v[76:77], s[18:19], v[78:79] op_sel_hi:[1,0,1] neg_lo:[1,0,1] neg_hi:[1,0,1]
	v_pk_add_f32 v[80:81], v[80:81], v[74:75]
	v_pk_fma_f32 v[78:79], v[100:101], s[8:9], v[78:79] op_sel_hi:[1,0,1]
	v_mov_b32_e32 v121, v115
	v_pk_add_f32 v[98:99], v[80:81], v[78:79] neg_lo:[0,1] neg_hi:[0,1]
	v_pk_add_f32 v[78:79], v[80:81], v[78:79]
	v_mov_b32_e32 v81, v99
	v_mov_b32_e32 v80, v78
	global_store_dwordx2 v[92:93], v[80:81], off
	v_mov_b32_e32 v97, v83
	v_pk_fma_f32 v[80:81], v[90:91], s[14:15], v[120:121] op_sel_hi:[1,0,1] neg_lo:[0,0,1] neg_hi:[0,0,1]
	s_mov_b32 s15, 0x80808081
	v_pk_fma_f32 v[76:77], v[76:77], s[18:19], v[96:97] op_sel_hi:[1,0,1] neg_lo:[0,0,1] neg_hi:[0,0,1]
	v_mul_hi_u32 v16, v65, s15
	v_pk_fma_f32 v[76:77], v[100:101], s[8:9], v[76:77] op_sel_hi:[1,0,1]
	v_pk_add_f32 v[74:75], v[80:81], v[74:75]
	v_lshrrev_b32_e32 v16, 7, v16
	v_pk_add_f32 v[80:81], v[74:75], v[76:77]
	v_pk_add_f32 v[74:75], v[74:75], v[76:77] neg_lo:[0,1] neg_hi:[0,1]
	v_mad_u32_u24 v18, v16, s9, v65
	v_mov_b32_e32 v76, v74
	v_mov_b32_e32 v77, v81
	;; [unrolled: 1-line block ×3, first 2 shown]
	v_mad_u64_u32 v[74:75], s[22:23], s16, v18, 0
	v_mov_b32_e32 v16, v75
	global_store_dwordx2 v[94:95], v[76:77], off
	v_mad_u64_u32 v[76:77], s[22:23], s17, v18, v[16:17]
	v_add_u32_e32 v21, 0xff, v18
	v_mov_b32_e32 v75, v76
	v_mad_u64_u32 v[76:77], s[22:23], s16, v21, 0
	v_mov_b32_e32 v16, v77
	v_mov_b32_e32 v99, v79
	v_mad_u64_u32 v[78:79], s[22:23], s17, v21, v[16:17]
	v_add_u32_e32 v21, 0x1fe, v18
	v_mov_b32_e32 v77, v78
	v_mad_u64_u32 v[78:79], s[22:23], s16, v21, 0
	v_mov_b32_e32 v16, v79
	global_store_dwordx2 v[86:87], v[80:81], off
	v_mad_u64_u32 v[80:81], s[22:23], s17, v21, v[16:17]
	v_add_u32_e32 v21, 0x2fd, v18
	v_mov_b32_e32 v79, v80
	v_mad_u64_u32 v[80:81], s[22:23], s16, v21, 0
	v_mov_b32_e32 v16, v81
	v_mad_u64_u32 v[82:83], s[22:23], s17, v21, v[16:17]
	v_add_u32_e32 v21, 0x3fc, v18
	v_mov_b32_e32 v81, v82
	v_mad_u64_u32 v[82:83], s[22:23], s16, v21, 0
	v_mov_b32_e32 v16, v83
	v_mov_b32_e32 v103, v85
	v_mad_u64_u32 v[84:85], s[22:23], s17, v21, v[16:17]
	v_add_u32_e32 v21, 0x4fb, v18
	v_mov_b32_e32 v83, v84
	v_mad_u64_u32 v[84:85], s[22:23], s16, v21, 0
	v_mov_b32_e32 v16, v85
	v_mad_u64_u32 v[86:87], s[22:23], s17, v21, v[16:17]
	v_add_u32_e32 v18, 0x5fa, v18
	v_mov_b32_e32 v85, v86
	v_mad_u64_u32 v[86:87], s[22:23], s16, v18, 0
	v_mov_b32_e32 v16, v87
	global_store_dwordx2 v[88:89], v[98:99], off
	v_mad_u64_u32 v[88:89], s[22:23], s17, v18, v[16:17]
	v_mov_b32_e32 v18, v5
	v_mov_b32_e32 v62, v5
	;; [unrolled: 1-line block ×6, first 2 shown]
	v_pk_mul_f32 v[4:5], v[36:37], v[4:5]
	v_mul_f32_e32 v69, v39, v6
	v_pk_fma_f32 v[44:45], v[16:17], v[18:19], v[4:5]
	v_pk_fma_f32 v[4:5], v[56:57], v[62:63], v[4:5] neg_lo:[0,0,1] neg_hi:[0,0,1]
	v_mov_b32_e32 v56, v9
	v_mov_b32_e32 v38, v37
	;; [unrolled: 1-line block ×3, first 2 shown]
	v_fmac_f32_e32 v69, v59, v7
	v_mov_b32_e32 v58, v57
	v_mov_b32_e32 v57, v6
	v_pk_mul_f32 v[6:7], v[38:39], v[8:9]
	v_mul_f32_e32 v67, v33, v0
	v_pk_fma_f32 v[8:9], v[58:59], v[56:57], v[6:7]
	v_pk_fma_f32 v[6:7], v[58:59], v[56:57], v[6:7] neg_lo:[0,0,1] neg_hi:[0,0,1]
	v_mov_b32_e32 v16, v3
	v_mov_b32_e32 v60, v3
	;; [unrolled: 1-line block ×7, first 2 shown]
	v_fmac_f32_e32 v67, v53, v1
	v_mov_b32_e32 v4, v61
	v_mov_b32_e32 v54, v61
	;; [unrolled: 1-line block ×3, first 2 shown]
	v_pk_mul_f32 v[2:3], v[34:35], v[2:3]
	v_mov_b32_e32 v9, v7
	v_mov_b32_e32 v52, v55
	v_mov_b32_e32 v7, v0
	v_pk_mul_f32 v[0:1], v[32:33], v[10:11]
	v_pk_fma_f32 v[40:41], v[4:5], v[16:17], v[2:3]
	v_pk_fma_f32 v[2:3], v[54:55], v[60:61], v[2:3] neg_lo:[0,0,1] neg_hi:[0,0,1]
	v_pk_fma_f32 v[10:11], v[52:53], v[6:7], v[0:1]
	v_pk_fma_f32 v[0:1], v[52:53], v[6:7], v[0:1] neg_lo:[0,0,1] neg_hi:[0,0,1]
	v_mov_b32_e32 v45, v5
	v_mov_b32_e32 v41, v3
	;; [unrolled: 1-line block ×3, first 2 shown]
	v_pk_add_f32 v[0:1], v[10:11], v[8:9]
	v_pk_add_f32 v[6:7], v[40:41], v[44:45]
	v_add_f32_e32 v64, v67, v69
	v_mov_b32_e32 v65, v7
	v_mov_b32_e32 v16, v0
	v_pk_add_f32 v[32:33], v[64:65], v[16:17] neg_lo:[0,1] neg_hi:[0,1]
	v_mov_b32_e32 v65, v1
	v_mov_b32_e32 v16, v6
	v_pk_add_f32 v[34:35], v[0:1], v[6:7] neg_lo:[0,1] neg_hi:[0,1]
	v_pk_add_f32 v[38:39], v[64:65], v[16:17]
	v_mov_b32_e32 v1, v7
	v_pk_add_f32 v[0:1], v[0:1], v[38:39]
	v_mov_b32_e32 v50, v31
	v_pk_mul_f32 v[32:33], v[32:33], s[2:3]
	v_pk_add_f32 v[6:7], v[50:51], v[0:1]
	v_pk_mul_f32 v[36:37], v[34:35], s[6:7]
	v_pk_fma_f32 v[34:35], v[34:35], s[6:7], v[32:33]
	v_pk_fma_f32 v[0:1], v[0:1], s[20:21], v[6:7] op_sel_hi:[1,0,1] neg_lo:[1,0,0] neg_hi:[1,0,0]
	v_mov_b32_e32 v66, v3
	v_mov_b32_e32 v68, v5
	;; [unrolled: 1-line block ×4, first 2 shown]
	v_pk_add_f32 v[60:61], v[40:41], v[44:45] neg_lo:[0,1] neg_hi:[0,1]
	v_pk_add_f32 v[30:31], v[34:35], v[0:1]
	v_pk_add_f32 v[34:35], v[10:11], v[8:9] neg_lo:[0,1] neg_hi:[0,1]
	v_pk_add_f32 v[2:3], v[66:67], v[68:69] neg_lo:[0,1] neg_hi:[0,1]
	;; [unrolled: 1-line block ×3, first 2 shown]
	v_mov_b32_e32 v8, v35
	v_mov_b32_e32 v9, v5
	;; [unrolled: 1-line block ×4, first 2 shown]
	v_pk_add_f32 v[8:9], v[8:9], v[10:11] neg_lo:[0,1] neg_hi:[0,1]
	v_pk_add_f32 v[10:11], v[2:3], v[4:5] neg_lo:[0,1] neg_hi:[0,1]
	v_mov_b32_e32 v40, v2
	v_mov_b32_e32 v41, v5
	;; [unrolled: 1-line block ×3, first 2 shown]
	v_pk_mul_f32 v[8:9], v[8:9], s[10:11]
	v_pk_add_f32 v[40:41], v[40:41], v[4:5]
	v_mov_b32_e32 v2, v35
	v_pk_mul_f32 v[38:39], v[10:11], s[12:13]
	v_pk_fma_f32 v[10:11], v[10:11], s[12:13], v[8:9]
	v_pk_add_f32 v[34:35], v[2:3], v[40:41]
	v_lshl_add_u64 v[110:111], v[110:111], 3, v[12:13]
	v_pk_fma_f32 v[10:11], v[34:35], s[8:9], v[10:11] op_sel_hi:[1,0,1]
	v_lshl_add_u64 v[74:75], v[74:75], 3, v[12:13]
	v_pk_add_f32 v[40:41], v[30:31], v[10:11] neg_lo:[0,1] neg_hi:[0,1]
	v_pk_add_f32 v[10:11], v[30:31], v[10:11]
	global_store_dwordx2 v[110:111], v[102:103], off
	v_lshl_add_u64 v[76:77], v[76:77], 3, v[12:13]
	global_store_dwordx2 v[74:75], v[6:7], off
	v_mov_b32_e32 v6, v10
	v_mov_b32_e32 v7, v41
	global_store_dwordx2 v[76:77], v[6:7], off
	v_mov_b32_e32 v6, v32
	v_mov_b32_e32 v7, v37
	v_pk_add_f32 v[16:17], v[16:17], v[64:65] neg_lo:[0,1] neg_hi:[0,1]
	v_pk_add_f32 v[2:3], v[4:5], v[2:3] neg_lo:[0,1] neg_hi:[0,1]
	v_mov_b32_e32 v4, v8
	v_mov_b32_e32 v5, v39
	v_pk_fma_f32 v[6:7], v[16:17], s[14:15], v[6:7] op_sel_hi:[1,0,1] neg_lo:[1,0,1] neg_hi:[1,0,1]
	v_pk_fma_f32 v[4:5], v[2:3], s[18:19], v[4:5] op_sel_hi:[1,0,1] neg_lo:[1,0,1] neg_hi:[1,0,1]
	v_pk_add_f32 v[6:7], v[6:7], v[0:1]
	v_pk_fma_f32 v[4:5], v[34:35], s[8:9], v[4:5] op_sel_hi:[1,0,1]
	v_lshl_add_u64 v[78:79], v[78:79], 3, v[12:13]
	v_pk_add_f32 v[30:31], v[6:7], v[4:5] neg_lo:[0,1] neg_hi:[0,1]
	v_pk_add_f32 v[4:5], v[6:7], v[4:5]
	v_mov_b32_e32 v7, v31
	v_mov_b32_e32 v6, v4
	;; [unrolled: 1-line block ×4, first 2 shown]
	global_store_dwordx2 v[78:79], v[6:7], off
	v_pk_fma_f32 v[2:3], v[2:3], s[18:19], v[38:39] op_sel_hi:[1,0,1] neg_lo:[0,0,1] neg_hi:[0,0,1]
	v_pk_fma_f32 v[6:7], v[16:17], s[14:15], v[36:37] op_sel_hi:[1,0,1] neg_lo:[0,0,1] neg_hi:[0,0,1]
	v_pk_fma_f32 v[2:3], v[34:35], s[8:9], v[2:3] op_sel_hi:[1,0,1]
	v_pk_add_f32 v[0:1], v[6:7], v[0:1]
	v_mov_b32_e32 v87, v88
	v_pk_add_f32 v[6:7], v[0:1], v[2:3]
	v_pk_add_f32 v[0:1], v[0:1], v[2:3] neg_lo:[0,1] neg_hi:[0,1]
	v_lshl_add_u64 v[80:81], v[80:81], 3, v[12:13]
	v_lshl_add_u64 v[82:83], v[82:83], 3, v[12:13]
	;; [unrolled: 1-line block ×4, first 2 shown]
	v_mov_b32_e32 v2, v0
	v_mov_b32_e32 v3, v7
	;; [unrolled: 1-line block ×5, first 2 shown]
	global_store_dwordx2 v[80:81], v[2:3], off
	global_store_dwordx2 v[82:83], v[6:7], off
	;; [unrolled: 1-line block ×4, first 2 shown]
	s_and_b64 exec, exec, s[0:1]
	s_cbranch_execz .LBB0_26
; %bb.25:
	v_subrev_u32_e32 v0, 17, v116
	v_cndmask_b32_e64 v0, v0, v117, s[0:1]
	v_mul_i32_i24_e32 v0, 6, v0
	v_mov_b32_e32 v1, 0
	v_lshl_add_u64 v[16:17], v[0:1], 3, s[4:5]
	global_load_dwordx4 v[0:3], v[16:17], off offset:1904
	global_load_dwordx4 v[4:7], v[16:17], off offset:1920
	;; [unrolled: 1-line block ×3, first 2 shown]
	v_mov_b32_e32 v26, v29
	v_mov_b32_e32 v16, v15
	;; [unrolled: 1-line block ×10, first 2 shown]
	s_mov_b32 s0, 0xbf955555
	s_waitcnt vmcnt(2)
	v_mov_b32_e32 v36, v3
	s_waitcnt vmcnt(1)
	v_mov_b32_e32 v37, v4
	s_waitcnt vmcnt(0)
	v_mul_f32_e32 v21, v48, v9
	v_mov_b32_e32 v39, v8
	v_mul_f32_e32 v31, v14, v1
	v_mov_b32_e32 v14, v5
	v_mov_b32_e32 v40, v5
	;; [unrolled: 1-line block ×7, first 2 shown]
	v_fmac_f32_e32 v21, v28, v8
	v_mov_b32_e32 v8, v6
	v_mov_b32_e32 v38, v7
	v_mul_f32_e32 v3, v19, v3
	v_mov_b32_e32 v41, v2
	v_mov_b32_e32 v50, v11
	;; [unrolled: 1-line block ×3, first 2 shown]
	v_fma_f32 v48, v20, v0, -v31
	v_pk_mul_f32 v[16:17], v[16:17], v[36:37]
	v_pk_mul_f32 v[0:1], v[24:25], v[0:1]
	v_pk_mul_f32 v[4:5], v[26:27], v[4:5]
	v_pk_mul_f32 v[8:9], v[34:35], v[8:9]
	v_fmac_f32_e32 v3, v15, v2
	v_pk_fma_f32 v[14:15], v[18:19], v[14:15], v[16:17] op_sel:[0,0,1] op_sel_hi:[1,1,0]
	v_pk_fma_f32 v[16:17], v[18:19], v[40:41], v[16:17] op_sel:[0,0,1] op_sel_hi:[1,1,0] neg_lo:[0,0,1] neg_hi:[0,0,1]
	v_pk_fma_f32 v[18:19], v[42:43], v[44:45], v[0:1]
	v_pk_fma_f32 v[0:1], v[42:43], v[44:45], v[0:1] neg_lo:[0,0,1] neg_hi:[0,0,1]
	v_pk_fma_f32 v[24:25], v[46:47], v[50:51], v[4:5]
	v_pk_fma_f32 v[4:5], v[46:47], v[50:51], v[4:5] neg_lo:[0,0,1] neg_hi:[0,0,1]
	v_pk_fma_f32 v[26:27], v[30:31], v[38:39], v[8:9] op_sel_hi:[0,1,1]
	v_pk_fma_f32 v[8:9], v[32:33], v[38:39], v[8:9] neg_lo:[0,0,1] neg_hi:[0,0,1]
	v_mul_f32_e32 v29, v29, v11
	v_mov_b32_e32 v15, v17
	v_mov_b32_e32 v19, v1
	;; [unrolled: 1-line block ×4, first 2 shown]
	v_fma_f32 v10, v49, v10, -v29
	v_mov_b32_e32 v49, v18
	v_mov_b32_e32 v11, v24
	;; [unrolled: 1-line block ×7, first 2 shown]
	v_pk_add_f32 v[18:19], v[18:19], v[24:25]
	v_mov_b32_e32 v5, v26
	v_pk_add_f32 v[14:15], v[14:15], v[26:27]
	v_add_f32_e32 v7, v48, v10
	v_add_f32_e32 v0, v3, v21
	v_pk_add_f32 v[10:11], v[48:49], v[10:11] neg_lo:[0,1] neg_hi:[0,1]
	v_pk_add_f32 v[2:3], v[2:3], v[20:21] neg_lo:[0,1] neg_hi:[0,1]
	v_pk_add_f32 v[4:5], v[4:5], v[16:17] neg_lo:[0,1] neg_hi:[0,1]
	v_mov_b32_e32 v6, v18
	v_mov_b32_e32 v1, v15
	;; [unrolled: 1-line block ×8, first 2 shown]
	v_pk_add_f32 v[24:25], v[18:19], v[14:15] neg_lo:[0,1] neg_hi:[0,1]
	v_pk_add_f32 v[26:27], v[4:5], v[2:3]
	v_mov_b32_e32 v16, v4
	v_mov_b32_e32 v30, v2
	;; [unrolled: 1-line block ×6, first 2 shown]
	v_pk_add_f32 v[18:19], v[0:1], v[6:7]
	v_pk_add_f32 v[8:9], v[28:29], v[8:9] neg_lo:[0,1] neg_hi:[0,1]
	v_pk_add_f32 v[16:17], v[16:17], v[30:31] neg_lo:[0,1] neg_hi:[0,1]
	;; [unrolled: 1-line block ×3, first 2 shown]
	v_pk_add_f32 v[14:15], v[14:15], v[18:19]
	v_pk_add_f32 v[18:19], v[26:27], v[10:11]
	;; [unrolled: 1-line block ×3, first 2 shown]
	v_pk_mul_f32 v[8:9], v[8:9], s[6:7]
	v_pk_mul_f32 v[22:23], v[24:25], s[2:3]
	;; [unrolled: 1-line block ×4, first 2 shown]
	v_pk_fma_f32 v[24:25], v[24:25], s[2:3], v[8:9]
	v_pk_fma_f32 v[4:5], v[4:5], s[10:11], v[16:17]
	v_pk_add_f32 v[0:1], v[0:1], v[6:7] neg_lo:[0,1] neg_hi:[0,1]
	v_pk_add_f32 v[2:3], v[2:3], v[10:11] neg_lo:[0,1] neg_hi:[0,1]
	v_mov_b32_e32 v6, v22
	v_mov_b32_e32 v7, v9
	;; [unrolled: 1-line block ×6, first 2 shown]
	v_pk_fma_f32 v[14:15], v[14:15], s[0:1], v[20:21] op_sel_hi:[1,0,1]
	v_pk_fma_f32 v[6:7], v[0:1], s[14:15], v[6:7] op_sel_hi:[1,0,1] neg_lo:[1,0,1] neg_hi:[1,0,1]
	v_pk_fma_f32 v[10:11], v[2:3], s[18:19], v[10:11] op_sel_hi:[1,0,1] neg_lo:[1,0,1] neg_hi:[1,0,1]
	;; [unrolled: 1-line block ×4, first 2 shown]
	v_pk_add_f32 v[6:7], v[6:7], v[14:15]
	v_pk_add_f32 v[0:1], v[0:1], v[14:15]
	v_pk_fma_f32 v[2:3], v[18:19], s[8:9], v[2:3] op_sel_hi:[1,0,1]
	v_pk_fma_f32 v[8:9], v[18:19], s[8:9], v[10:11] op_sel_hi:[1,0,1]
	v_add_u32_e32 v17, 0xee, v116
	v_pk_add_f32 v[24:25], v[24:25], v[14:15]
	v_pk_add_f32 v[14:15], v[6:7], v[8:9]
	v_pk_add_f32 v[6:7], v[6:7], v[8:9] neg_lo:[0,1] neg_hi:[0,1]
	v_pk_add_f32 v[8:9], v[0:1], v[2:3] neg_lo:[0,1] neg_hi:[0,1]
	v_pk_add_f32 v[0:1], v[0:1], v[2:3]
	v_mad_u64_u32 v[2:3], s[0:1], s16, v17, 0
	v_mov_b32_e32 v16, v3
	v_mad_u64_u32 v[16:17], s[0:1], s17, v17, v[16:17]
	v_mov_b32_e32 v3, v16
	v_lshl_add_u64 v[2:3], v[2:3], 3, v[12:13]
	v_add_u32_e32 v17, 0x1ed, v116
	global_store_dwordx2 v[2:3], v[20:21], off
	v_mad_u64_u32 v[2:3], s[0:1], s16, v17, 0
	v_mov_b32_e32 v16, v3
	v_pk_fma_f32 v[4:5], v[18:19], s[8:9], v[4:5] op_sel_hi:[1,0,1]
	v_mad_u64_u32 v[16:17], s[0:1], s17, v17, v[16:17]
	v_pk_add_f32 v[10:11], v[24:25], v[4:5]
	v_pk_add_f32 v[4:5], v[24:25], v[4:5] neg_lo:[0,1] neg_hi:[0,1]
	v_mov_b32_e32 v3, v16
	v_lshl_add_u64 v[2:3], v[2:3], 3, v[12:13]
	v_mov_b32_e32 v16, v10
	v_mov_b32_e32 v17, v5
	v_add_u32_e32 v5, 0x2ec, v116
	global_store_dwordx2 v[2:3], v[16:17], off
	v_mad_u64_u32 v[2:3], s[0:1], s16, v5, 0
	v_mov_b32_e32 v10, v3
	v_mad_u64_u32 v[16:17], s[0:1], s17, v5, v[10:11]
	v_mov_b32_e32 v3, v16
	v_lshl_add_u64 v[2:3], v[2:3], 3, v[12:13]
	v_mov_b32_e32 v16, v14
	v_mov_b32_e32 v17, v7
	v_add_u32_e32 v5, 0x3eb, v116
	global_store_dwordx2 v[2:3], v[16:17], off
	v_mad_u64_u32 v[2:3], s[0:1], s16, v5, 0
	v_mov_b32_e32 v10, v3
	v_mad_u64_u32 v[16:17], s[0:1], s17, v5, v[10:11]
	;; [unrolled: 9-line block ×3, first 2 shown]
	v_mov_b32_e32 v3, v16
	v_lshl_add_u64 v[2:3], v[2:3], 3, v[12:13]
	v_mov_b32_e32 v1, v9
	global_store_dwordx2 v[2:3], v[0:1], off
	v_add_u32_e32 v3, 0x5e9, v116
	v_mad_u64_u32 v[0:1], s[0:1], s16, v3, 0
	v_mov_b32_e32 v2, v1
	v_mad_u64_u32 v[2:3], s[0:1], s17, v3, v[2:3]
	v_mov_b32_e32 v1, v2
	v_lshl_add_u64 v[0:1], v[0:1], 3, v[12:13]
	v_mov_b32_e32 v7, v15
	v_add_u32_e32 v3, 0x6e8, v116
	global_store_dwordx2 v[0:1], v[6:7], off
	v_mad_u64_u32 v[0:1], s[0:1], s16, v3, 0
	v_mov_b32_e32 v2, v1
	v_mad_u64_u32 v[2:3], s[0:1], s17, v3, v[2:3]
	v_mov_b32_e32 v1, v2
	v_lshl_add_u64 v[0:1], v[0:1], 3, v[12:13]
	v_mov_b32_e32 v5, v11
	global_store_dwordx2 v[0:1], v[4:5], off
	s_endpgm
.LBB0_26:
	s_endpgm
	.section	.rodata,"a",@progbits
	.p2align	6, 0x0
	.amdhsa_kernel fft_rtc_back_len1785_factors_17_3_5_7_wgs_119_tpt_119_halfLds_sp_op_CI_CI_sbrr_dirReg
		.amdhsa_group_segment_fixed_size 0
		.amdhsa_private_segment_fixed_size 0
		.amdhsa_kernarg_size 104
		.amdhsa_user_sgpr_count 2
		.amdhsa_user_sgpr_dispatch_ptr 0
		.amdhsa_user_sgpr_queue_ptr 0
		.amdhsa_user_sgpr_kernarg_segment_ptr 1
		.amdhsa_user_sgpr_dispatch_id 0
		.amdhsa_user_sgpr_kernarg_preload_length 0
		.amdhsa_user_sgpr_kernarg_preload_offset 0
		.amdhsa_user_sgpr_private_segment_size 0
		.amdhsa_uses_dynamic_stack 0
		.amdhsa_enable_private_segment 0
		.amdhsa_system_sgpr_workgroup_id_x 1
		.amdhsa_system_sgpr_workgroup_id_y 0
		.amdhsa_system_sgpr_workgroup_id_z 0
		.amdhsa_system_sgpr_workgroup_info 0
		.amdhsa_system_vgpr_workitem_id 0
		.amdhsa_next_free_vgpr 146
		.amdhsa_next_free_sgpr 70
		.amdhsa_accum_offset 148
		.amdhsa_reserve_vcc 1
		.amdhsa_float_round_mode_32 0
		.amdhsa_float_round_mode_16_64 0
		.amdhsa_float_denorm_mode_32 3
		.amdhsa_float_denorm_mode_16_64 3
		.amdhsa_dx10_clamp 1
		.amdhsa_ieee_mode 1
		.amdhsa_fp16_overflow 0
		.amdhsa_tg_split 0
		.amdhsa_exception_fp_ieee_invalid_op 0
		.amdhsa_exception_fp_denorm_src 0
		.amdhsa_exception_fp_ieee_div_zero 0
		.amdhsa_exception_fp_ieee_overflow 0
		.amdhsa_exception_fp_ieee_underflow 0
		.amdhsa_exception_fp_ieee_inexact 0
		.amdhsa_exception_int_div_zero 0
	.end_amdhsa_kernel
	.text
.Lfunc_end0:
	.size	fft_rtc_back_len1785_factors_17_3_5_7_wgs_119_tpt_119_halfLds_sp_op_CI_CI_sbrr_dirReg, .Lfunc_end0-fft_rtc_back_len1785_factors_17_3_5_7_wgs_119_tpt_119_halfLds_sp_op_CI_CI_sbrr_dirReg
                                        ; -- End function
	.section	.AMDGPU.csdata,"",@progbits
; Kernel info:
; codeLenInByte = 14764
; NumSgprs: 76
; NumVgprs: 146
; NumAgprs: 0
; TotalNumVgprs: 146
; ScratchSize: 0
; MemoryBound: 0
; FloatMode: 240
; IeeeMode: 1
; LDSByteSize: 0 bytes/workgroup (compile time only)
; SGPRBlocks: 9
; VGPRBlocks: 18
; NumSGPRsForWavesPerEU: 76
; NumVGPRsForWavesPerEU: 146
; AccumOffset: 148
; Occupancy: 3
; WaveLimiterHint : 1
; COMPUTE_PGM_RSRC2:SCRATCH_EN: 0
; COMPUTE_PGM_RSRC2:USER_SGPR: 2
; COMPUTE_PGM_RSRC2:TRAP_HANDLER: 0
; COMPUTE_PGM_RSRC2:TGID_X_EN: 1
; COMPUTE_PGM_RSRC2:TGID_Y_EN: 0
; COMPUTE_PGM_RSRC2:TGID_Z_EN: 0
; COMPUTE_PGM_RSRC2:TIDIG_COMP_CNT: 0
; COMPUTE_PGM_RSRC3_GFX90A:ACCUM_OFFSET: 36
; COMPUTE_PGM_RSRC3_GFX90A:TG_SPLIT: 0
	.text
	.p2alignl 6, 3212836864
	.fill 256, 4, 3212836864
	.type	__hip_cuid_2bdbcd7511d99d62,@object ; @__hip_cuid_2bdbcd7511d99d62
	.section	.bss,"aw",@nobits
	.globl	__hip_cuid_2bdbcd7511d99d62
__hip_cuid_2bdbcd7511d99d62:
	.byte	0                               ; 0x0
	.size	__hip_cuid_2bdbcd7511d99d62, 1

	.ident	"AMD clang version 19.0.0git (https://github.com/RadeonOpenCompute/llvm-project roc-6.4.0 25133 c7fe45cf4b819c5991fe208aaa96edf142730f1d)"
	.section	".note.GNU-stack","",@progbits
	.addrsig
	.addrsig_sym __hip_cuid_2bdbcd7511d99d62
	.amdgpu_metadata
---
amdhsa.kernels:
  - .agpr_count:     0
    .args:
      - .actual_access:  read_only
        .address_space:  global
        .offset:         0
        .size:           8
        .value_kind:     global_buffer
      - .offset:         8
        .size:           8
        .value_kind:     by_value
      - .actual_access:  read_only
        .address_space:  global
        .offset:         16
        .size:           8
        .value_kind:     global_buffer
      - .actual_access:  read_only
        .address_space:  global
        .offset:         24
        .size:           8
        .value_kind:     global_buffer
      - .actual_access:  read_only
        .address_space:  global
        .offset:         32
        .size:           8
        .value_kind:     global_buffer
      - .offset:         40
        .size:           8
        .value_kind:     by_value
      - .actual_access:  read_only
        .address_space:  global
        .offset:         48
        .size:           8
        .value_kind:     global_buffer
      - .actual_access:  read_only
        .address_space:  global
        .offset:         56
        .size:           8
        .value_kind:     global_buffer
      - .offset:         64
        .size:           4
        .value_kind:     by_value
      - .actual_access:  read_only
        .address_space:  global
        .offset:         72
        .size:           8
        .value_kind:     global_buffer
      - .actual_access:  read_only
        .address_space:  global
        .offset:         80
        .size:           8
        .value_kind:     global_buffer
      - .actual_access:  read_only
        .address_space:  global
        .offset:         88
        .size:           8
        .value_kind:     global_buffer
      - .actual_access:  write_only
        .address_space:  global
        .offset:         96
        .size:           8
        .value_kind:     global_buffer
    .group_segment_fixed_size: 0
    .kernarg_segment_align: 8
    .kernarg_segment_size: 104
    .language:       OpenCL C
    .language_version:
      - 2
      - 0
    .max_flat_workgroup_size: 119
    .name:           fft_rtc_back_len1785_factors_17_3_5_7_wgs_119_tpt_119_halfLds_sp_op_CI_CI_sbrr_dirReg
    .private_segment_fixed_size: 0
    .sgpr_count:     76
    .sgpr_spill_count: 0
    .symbol:         fft_rtc_back_len1785_factors_17_3_5_7_wgs_119_tpt_119_halfLds_sp_op_CI_CI_sbrr_dirReg.kd
    .uniform_work_group_size: 1
    .uses_dynamic_stack: false
    .vgpr_count:     146
    .vgpr_spill_count: 0
    .wavefront_size: 64
amdhsa.target:   amdgcn-amd-amdhsa--gfx950
amdhsa.version:
  - 1
  - 2
...

	.end_amdgpu_metadata
